;; amdgpu-corpus repo=ROCm/rocFFT kind=compiled arch=gfx1030 opt=O3
	.text
	.amdgcn_target "amdgcn-amd-amdhsa--gfx1030"
	.amdhsa_code_object_version 6
	.protected	bluestein_single_back_len880_dim1_dp_op_CI_CI ; -- Begin function bluestein_single_back_len880_dim1_dp_op_CI_CI
	.globl	bluestein_single_back_len880_dim1_dp_op_CI_CI
	.p2align	8
	.type	bluestein_single_back_len880_dim1_dp_op_CI_CI,@function
bluestein_single_back_len880_dim1_dp_op_CI_CI: ; @bluestein_single_back_len880_dim1_dp_op_CI_CI
; %bb.0:
	s_load_dwordx4 s[8:11], s[4:5], 0x28
	v_mul_u32_u24_e32 v1, 0x2e9, v0
	s_mov_b64 s[46:47], s[2:3]
	s_mov_b64 s[44:45], s[0:1]
	v_mov_b32_e32 v245, 0
	s_add_u32 s44, s44, s7
	v_lshrrev_b32_e32 v40, 16, v1
	s_addc_u32 s45, s45, 0
	s_mov_b32 s0, exec_lo
	v_lshl_add_u32 v244, s6, 1, v40
	s_waitcnt lgkmcnt(0)
	v_cmpx_gt_u64_e64 s[8:9], v[244:245]
	s_cbranch_execz .LBB0_10
; %bb.1:
	s_clause 0x1
	s_load_dwordx4 s[0:3], s[4:5], 0x18
	s_load_dwordx4 s[12:15], s[4:5], 0x0
	v_mul_lo_u16 v1, 0x58, v40
	v_and_b32_e32 v122, 1, v40
	v_sub_nc_u16 v44, v0, v1
	v_and_b32_e32 v201, 0xffff, v44
	v_lshlrev_b32_e32 v121, 4, v201
	v_add_co_u32 v175, null, 0x58, v201
	s_waitcnt lgkmcnt(0)
	s_load_dwordx4 s[16:19], s[0:1], 0x0
	s_clause 0x1
	global_load_dwordx4 v[0:3], v121, s[12:13]
	global_load_dwordx4 v[4:7], v121, s[12:13] offset:1408
	v_add_co_u32 v24, s0, s12, v121
	v_add_co_ci_u32_e64 v25, null, s13, 0, s0
	v_and_b32_e32 v132, 7, v201
	v_add_co_u32 v8, vcc_lo, 0x1800, v24
	v_add_co_ci_u32_e32 v9, vcc_lo, 0, v25, vcc_lo
	v_add_co_u32 v10, vcc_lo, 0x2000, v24
	v_add_co_ci_u32_e32 v11, vcc_lo, 0, v25, vcc_lo
	v_add_co_u32 v12, vcc_lo, 0x800, v24
	v_add_co_ci_u32_e32 v13, vcc_lo, 0, v25, vcc_lo
	s_waitcnt lgkmcnt(0)
	v_mad_u64_u32 v[16:17], null, s18, v244, 0
	v_mad_u64_u32 v[18:19], null, s16, v201, 0
	v_add_co_u32 v28, vcc_lo, 0x1000, v24
	v_add_co_ci_u32_e32 v29, vcc_lo, 0, v25, vcc_lo
	v_mov_b32_e32 v14, v17
	v_add_co_u32 v20, vcc_lo, 0x2800, v24
	v_mov_b32_e32 v15, v19
	v_add_co_ci_u32_e32 v21, vcc_lo, 0, v25, vcc_lo
	v_add_co_u32 v32, vcc_lo, 0x3000, v24
	v_mad_u64_u32 v[22:23], null, s19, v244, v[14:15]
	v_mad_u64_u32 v[23:24], null, s17, v201, v[15:16]
	v_add_co_ci_u32_e32 v33, vcc_lo, 0, v25, vcc_lo
	s_mul_i32 s0, s17, 0x1b80
	s_mul_hi_u32 s1, s16, 0x1b80
	v_mov_b32_e32 v17, v22
	s_mul_i32 s6, s16, 0x1b80
	v_mov_b32_e32 v19, v23
	s_add_i32 s1, s1, s0
	s_mul_hi_u32 s8, s16, 0xffffea00
	v_lshlrev_b64 v[16:17], 4, v[16:17]
	s_mul_i32 s7, s17, 0xffffea00
	v_lshlrev_b64 v[18:19], 4, v[18:19]
	s_mul_i32 s9, s16, 0xffffea00
	s_sub_i32 s0, s8, s16
	global_load_dwordx4 v[36:39], v[8:9], off offset:896
	v_add_co_u32 v16, vcc_lo, s10, v16
	v_add_co_ci_u32_e32 v17, vcc_lo, s11, v17, vcc_lo
	s_add_i32 s0, s0, s7
	v_add_co_u32 v30, vcc_lo, v16, v18
	v_add_co_ci_u32_e32 v31, vcc_lo, v17, v19, vcc_lo
	s_clause 0x2
	global_load_dwordx4 v[12:15], v[12:13], off offset:768
	global_load_dwordx4 v[24:27], v[10:11], off offset:256
	;; [unrolled: 1-line block ×3, first 2 shown]
	v_add_co_u32 v34, vcc_lo, v30, s6
	v_add_co_ci_u32_e32 v35, vcc_lo, s1, v31, vcc_lo
	s_clause 0x1
	global_load_dwordx4 v[16:19], v[28:29], off offset:128
	global_load_dwordx4 v[20:23], v[20:21], off offset:1024
	v_add_co_u32 v41, vcc_lo, v34, s9
	v_add_co_ci_u32_e32 v42, vcc_lo, s0, v35, vcc_lo
	s_clause 0x1
	global_load_dwordx4 v[45:48], v[30:31], off
	global_load_dwordx4 v[49:52], v[34:35], off
	v_add_co_u32 v57, vcc_lo, v41, s6
	v_add_co_ci_u32_e32 v58, vcc_lo, s1, v42, vcc_lo
	v_add_co_u32 v61, vcc_lo, v57, s9
	v_add_co_ci_u32_e32 v62, vcc_lo, s0, v58, vcc_lo
	s_clause 0x1
	global_load_dwordx4 v[53:56], v[41:42], off
	global_load_dwordx4 v[57:60], v[57:58], off
	v_add_co_u32 v30, vcc_lo, v61, s6
	v_add_co_ci_u32_e32 v31, vcc_lo, s1, v62, vcc_lo
	global_load_dwordx4 v[61:64], v[61:62], off
	v_add_co_u32 v34, vcc_lo, v30, s9
	v_add_co_ci_u32_e32 v35, vcc_lo, s0, v31, vcc_lo
	;; [unrolled: 3-line block ×4, first 2 shown]
	v_add_co_u32 v81, vcc_lo, v77, s6
	v_add_co_ci_u32_e32 v82, vcc_lo, s1, v78, vcc_lo
	global_load_dwordx4 v[73:76], v[41:42], off
	global_load_dwordx4 v[28:31], v[28:29], off offset:1536
	global_load_dwordx4 v[77:80], v[77:78], off
	global_load_dwordx4 v[32:35], v[32:33], off offset:384
	global_load_dwordx4 v[81:84], v[81:82], off
	v_cmp_eq_u32_e32 vcc_lo, 1, v122
	s_load_dwordx4 s[8:11], s[2:3], 0x0
	s_load_dwordx2 s[2:3], s[4:5], 0x38
	v_cndmask_b32_e64 v122, 0, 0x370, vcc_lo
	v_cmp_gt_u16_e32 vcc_lo, 0x50, v44
	v_lshlrev_b32_e32 v203, 4, v122
	v_add_nc_u32_e32 v202, v203, v121
	v_lshl_add_u32 v205, v201, 5, v203
	v_lshl_add_u32 v225, v175, 5, v203
	s_waitcnt vmcnt(11)
	v_mul_f64 v[40:41], v[47:48], v[2:3]
	v_mul_f64 v[42:43], v[45:46], v[2:3]
	s_waitcnt vmcnt(10)
	v_mul_f64 v[85:86], v[51:52], v[38:39]
	v_mul_f64 v[87:88], v[49:50], v[38:39]
	;; [unrolled: 3-line block ×6, first 2 shown]
	v_fma_f64 v[40:41], v[45:46], v[0:1], v[40:41]
	v_fma_f64 v[42:43], v[47:48], v[0:1], -v[42:43]
	v_fma_f64 v[45:46], v[49:50], v[36:37], v[85:86]
	s_waitcnt vmcnt(5)
	v_mul_f64 v[105:106], v[71:72], v[18:19]
	v_mul_f64 v[107:108], v[69:70], v[18:19]
	v_fma_f64 v[47:48], v[51:52], v[36:37], -v[87:88]
	s_waitcnt vmcnt(4)
	v_mul_f64 v[109:110], v[75:76], v[22:23]
	v_mul_f64 v[111:112], v[73:74], v[22:23]
	s_waitcnt vmcnt(2)
	v_mul_f64 v[113:114], v[79:80], v[30:31]
	v_mul_f64 v[115:116], v[77:78], v[30:31]
	;; [unrolled: 3-line block ×3, first 2 shown]
	v_fma_f64 v[49:50], v[53:54], v[4:5], v[89:90]
	v_fma_f64 v[51:52], v[55:56], v[4:5], -v[91:92]
	v_fma_f64 v[53:54], v[57:58], v[24:25], v[93:94]
	v_fma_f64 v[55:56], v[59:60], v[24:25], -v[95:96]
	;; [unrolled: 2-line block ×8, first 2 shown]
	v_and_b32_e32 v109, 1, v201
	v_and_b32_e32 v114, 3, v201
	ds_write_b128 v202, v[40:43]
	ds_write_b128 v202, v[45:48] offset:7040
	ds_write_b128 v202, v[49:52] offset:1408
	;; [unrolled: 1-line block ×9, first 2 shown]
	s_waitcnt lgkmcnt(0)
	s_barrier
	buffer_gl0_inv
	ds_read_b128 v[40:43], v202 offset:7040
	ds_read_b128 v[46:49], v202
	ds_read_b128 v[50:53], v202 offset:1408
	ds_read_b128 v[54:57], v202 offset:8448
	;; [unrolled: 1-line block ×8, first 2 shown]
	v_lshlrev_b32_e32 v45, 1, v201
	s_waitcnt lgkmcnt(0)
	s_barrier
	buffer_gl0_inv
	v_and_or_b32 v44, 0xf0, v45, v132
	v_lshl_add_u32 v209, v44, 4, v203
	v_add_f64 v[40:41], v[46:47], -v[40:41]
	v_add_f64 v[42:43], v[48:49], -v[42:43]
	v_add_f64 v[82:83], v[50:51], -v[54:55]
	v_add_f64 v[84:85], v[52:53], -v[56:57]
	v_add_f64 v[57:58], v[62:63], -v[58:59]
	v_add_f64 v[59:60], v[64:65], -v[60:61]
	v_add_f64 v[70:71], v[66:67], -v[70:71]
	v_add_f64 v[72:73], v[68:69], -v[72:73]
	v_add_f64 v[78:79], v[74:75], -v[78:79]
	v_add_f64 v[80:81], v[76:77], -v[80:81]
	v_add_nc_u32_e32 v56, 0x2c0, v45
	v_lshl_add_u32 v215, v56, 4, v203
	v_fma_f64 v[86:87], v[46:47], 2.0, -v[40:41]
	v_fma_f64 v[88:89], v[48:49], 2.0, -v[42:43]
	;; [unrolled: 1-line block ×10, first 2 shown]
	v_add_nc_u32_e32 v46, 0x160, v45
	v_add_nc_u32_e32 v47, 0x210, v45
	v_lshlrev_b32_e32 v69, 4, v109
	v_lshl_add_u32 v219, v46, 4, v203
	v_lshl_add_u32 v216, v47, 4, v203
	ds_write_b128 v205, v[40:43] offset:16
	ds_write_b128 v205, v[86:89]
	ds_write_b128 v225, v[48:51]
	ds_write_b128 v225, v[82:85] offset:16
	ds_write_b128 v219, v[52:55]
	ds_write_b128 v219, v[57:60] offset:16
	;; [unrolled: 2-line block ×4, first 2 shown]
	s_waitcnt lgkmcnt(0)
	s_barrier
	buffer_gl0_inv
	global_load_dwordx4 v[52:55], v69, s[14:15]
	ds_read_b128 v[40:43], v202 offset:7040
	ds_read_b128 v[48:51], v202 offset:8448
	;; [unrolled: 1-line block ×6, first 2 shown]
	ds_read_b128 v[73:76], v202
	ds_read_b128 v[77:80], v202 offset:1408
	ds_read_b128 v[81:84], v202 offset:2816
	;; [unrolled: 1-line block ×3, first 2 shown]
	s_waitcnt vmcnt(0) lgkmcnt(0)
	s_barrier
	buffer_gl0_inv
	v_mul_f64 v[89:90], v[42:43], v[54:55]
	v_mul_f64 v[91:92], v[40:41], v[54:55]
	;; [unrolled: 1-line block ×10, first 2 shown]
	v_fma_f64 v[40:41], v[40:41], v[52:53], -v[89:90]
	v_fma_f64 v[42:43], v[42:43], v[52:53], v[91:92]
	v_fma_f64 v[48:49], v[48:49], v[52:53], -v[93:94]
	v_fma_f64 v[50:51], v[50:51], v[52:53], v[95:96]
	;; [unrolled: 2-line block ×5, first 2 shown]
	v_add_f64 v[40:41], v[73:74], -v[40:41]
	v_add_f64 v[42:43], v[75:76], -v[42:43]
	;; [unrolled: 1-line block ×10, first 2 shown]
	v_lshlrev_b32_e32 v57, 1, v175
	v_and_or_b32 v93, 0xfc, v45, v109
	v_and_or_b32 v94, 0x3fc, v47, v109
	;; [unrolled: 1-line block ×3, first 2 shown]
	v_lshl_add_u32 v226, v93, 4, v203
	v_lshl_add_u32 v214, v94, 4, v203
	v_lshl_add_u32 v212, v95, 4, v203
	v_fma_f64 v[73:74], v[73:74], 2.0, -v[40:41]
	v_fma_f64 v[75:76], v[75:76], 2.0, -v[42:43]
	;; [unrolled: 1-line block ×10, first 2 shown]
	v_and_or_b32 v71, 0x1fc, v57, v109
	v_and_or_b32 v72, 0x3fc, v46, v109
	v_lshlrev_b32_e32 v70, 4, v114
	v_lshl_add_u32 v156, v71, 4, v203
	v_lshl_add_u32 v217, v72, 4, v203
	ds_write_b128 v226, v[40:43] offset:32
	ds_write_b128 v226, v[73:76]
	ds_write_b128 v156, v[77:80]
	ds_write_b128 v156, v[48:51] offset:32
	ds_write_b128 v217, v[81:84]
	ds_write_b128 v217, v[58:61] offset:32
	;; [unrolled: 2-line block ×4, first 2 shown]
	s_waitcnt lgkmcnt(0)
	s_barrier
	buffer_gl0_inv
	global_load_dwordx4 v[48:51], v70, s[14:15] offset:32
	ds_read_b128 v[40:43], v202 offset:7040
	ds_read_b128 v[58:61], v202 offset:8448
	;; [unrolled: 1-line block ×6, first 2 shown]
	ds_read_b128 v[78:81], v202
	ds_read_b128 v[82:85], v202 offset:1408
	ds_read_b128 v[86:89], v202 offset:2816
	;; [unrolled: 1-line block ×3, first 2 shown]
	s_waitcnt vmcnt(0) lgkmcnt(0)
	s_barrier
	buffer_gl0_inv
	v_mul_f64 v[94:95], v[42:43], v[50:51]
	v_mul_f64 v[96:97], v[40:41], v[50:51]
	;; [unrolled: 1-line block ×10, first 2 shown]
	v_fma_f64 v[40:41], v[40:41], v[48:49], -v[94:95]
	v_fma_f64 v[42:43], v[42:43], v[48:49], v[96:97]
	v_fma_f64 v[58:59], v[58:59], v[48:49], -v[98:99]
	v_fma_f64 v[60:61], v[60:61], v[48:49], v[100:101]
	;; [unrolled: 2-line block ×5, first 2 shown]
	v_and_or_b32 v94, 0xf8, v45, v114
	v_and_or_b32 v96, 0x1f8, v57, v114
	;; [unrolled: 1-line block ×3, first 2 shown]
	v_lshlrev_b32_e32 v95, 4, v132
	v_and_or_b32 v98, 0x3f8, v47, v114
	v_and_or_b32 v99, 0x3f8, v56, v114
	v_lshl_add_u32 v224, v94, 4, v203
	v_lshl_add_u32 v218, v96, 4, v203
	;; [unrolled: 1-line block ×5, first 2 shown]
	v_and_or_b32 v45, 0x1f0, v57, v132
	v_add_f64 v[40:41], v[78:79], -v[40:41]
	v_add_f64 v[42:43], v[80:81], -v[42:43]
	;; [unrolled: 1-line block ×10, first 2 shown]
	v_and_or_b32 v46, 0x3f0, v46, v132
	v_and_or_b32 v47, 0x3f0, v47, v132
	;; [unrolled: 1-line block ×3, first 2 shown]
	v_lshl_add_u32 v208, v45, 4, v203
                                        ; implicit-def: $vgpr132_vgpr133
	v_lshl_add_u32 v207, v46, 4, v203
	v_lshl_add_u32 v206, v47, 4, v203
	;; [unrolled: 1-line block ×3, first 2 shown]
	v_fma_f64 v[78:79], v[78:79], 2.0, -v[40:41]
	v_fma_f64 v[80:81], v[80:81], 2.0, -v[42:43]
	;; [unrolled: 1-line block ×10, first 2 shown]
	ds_write_b128 v224, v[40:43] offset:64
	ds_write_b128 v224, v[78:81]
	ds_write_b128 v218, v[82:85]
	ds_write_b128 v218, v[58:61] offset:64
	ds_write_b128 v213, v[86:89]
	ds_write_b128 v213, v[62:65] offset:64
	;; [unrolled: 2-line block ×4, first 2 shown]
	s_waitcnt lgkmcnt(0)
	s_barrier
	buffer_gl0_inv
	global_load_dwordx4 v[40:43], v95, s[14:15] offset:96
	ds_read_b128 v[58:61], v202 offset:7040
	ds_read_b128 v[62:65], v202 offset:8448
	;; [unrolled: 1-line block ×6, first 2 shown]
	ds_read_b128 v[82:85], v202
	ds_read_b128 v[86:89], v202 offset:1408
	ds_read_b128 v[112:115], v202 offset:2816
	ds_read_b128 v[128:131], v202 offset:4224
	s_waitcnt vmcnt(0) lgkmcnt(0)
	s_barrier
	buffer_gl0_inv
	v_mul_f64 v[90:91], v[60:61], v[42:43]
	v_mul_f64 v[92:93], v[58:59], v[42:43]
	;; [unrolled: 1-line block ×10, first 2 shown]
	v_fma_f64 v[58:59], v[58:59], v[40:41], -v[90:91]
	v_fma_f64 v[60:61], v[60:61], v[40:41], v[92:93]
	v_fma_f64 v[62:63], v[62:63], v[40:41], -v[94:95]
	v_fma_f64 v[64:65], v[64:65], v[40:41], v[96:97]
	;; [unrolled: 2-line block ×5, first 2 shown]
	v_add_f64 v[100:101], v[82:83], -v[58:59]
	v_add_f64 v[102:103], v[84:85], -v[60:61]
	;; [unrolled: 1-line block ×10, first 2 shown]
	v_fma_f64 v[96:97], v[82:83], 2.0, -v[100:101]
	v_fma_f64 v[98:99], v[84:85], 2.0, -v[102:103]
	;; [unrolled: 1-line block ×10, first 2 shown]
	ds_write_b128 v209, v[100:103] offset:128
	ds_write_b128 v209, v[96:99]
	ds_write_b128 v208, v[124:127]
	ds_write_b128 v208, v[104:107] offset:128
	ds_write_b128 v207, v[116:119]
	ds_write_b128 v207, v[92:95] offset:128
	;; [unrolled: 2-line block ×4, first 2 shown]
	s_waitcnt lgkmcnt(0)
	s_barrier
	buffer_gl0_inv
	s_and_saveexec_b32 s0, vcc_lo
	s_cbranch_execz .LBB0_3
; %bb.2:
	ds_read_b128 v[96:99], v202
	ds_read_b128 v[100:103], v202 offset:1280
	ds_read_b128 v[124:127], v202 offset:2560
	;; [unrolled: 1-line block ×10, first 2 shown]
.LBB0_3:
	s_or_b32 exec_lo, exec_lo, s0
	v_and_b32_e32 v255, 15, v201
	s_mov_b32 s0, 0xf8bb580b
	s_mov_b32 s1, 0xbfe14ced
	;; [unrolled: 1-line block ×4, first 2 shown]
	v_mad_u64_u32 v[84:85], null, 0xa0, v255, s[14:15]
	s_mov_b32 s5, 0x3feaeb8c
	s_mov_b32 s17, 0xbfed1bb4
	;; [unrolled: 1-line block ×6, first 2 shown]
	s_clause 0x9
	global_load_dwordx4 v[220:223], v[84:85], off offset:224
	global_load_dwordx4 v[72:75], v[84:85], off offset:368
	;; [unrolled: 1-line block ×10, first 2 shown]
	s_mov_b32 s22, 0x640f44db
	s_mov_b32 s20, 0xbb3a28a1
	;; [unrolled: 1-line block ×10, first 2 shown]
	v_lshrrev_b32_e32 v243, 4, v201
	s_waitcnt vmcnt(0) lgkmcnt(0)
	s_barrier
	buffer_gl0_inv
	v_mul_f64 v[136:137], v[100:101], v[222:223]
	v_mul_f64 v[138:139], v[132:133], v[74:75]
	;; [unrolled: 1-line block ×11, first 2 shown]
	v_fma_f64 v[185:186], v[102:103], v[220:221], v[136:137]
	v_fma_f64 v[44:45], v[134:135], v[72:73], v[138:139]
	v_fma_f64 v[187:188], v[100:101], v[220:221], -v[140:141]
	v_fma_f64 v[100:101], v[132:133], v[72:73], -v[142:143]
	v_mul_f64 v[136:137], v[106:107], v[66:67]
	v_mul_f64 v[138:139], v[104:105], v[66:67]
	;; [unrolled: 1-line block ×4, first 2 shown]
	v_fma_f64 v[132:133], v[124:125], v[56:57], -v[144:145]
	v_fma_f64 v[134:135], v[126:127], v[56:57], v[146:147]
	v_fma_f64 v[122:123], v[122:123], v[60:61], v[150:151]
	v_fma_f64 v[120:121], v[120:121], v[60:61], -v[148:149]
	v_mul_f64 v[144:145], v[118:119], v[78:79]
	v_mul_f64 v[146:147], v[116:117], v[78:79]
	;; [unrolled: 1-line block ×3, first 2 shown]
	v_fma_f64 v[159:160], v[112:113], v[84:85], -v[157:158]
	v_fma_f64 v[161:162], v[114:115], v[84:85], v[161:162]
	v_add_f64 v[189:190], v[185:186], -v[44:45]
	v_add_f64 v[195:196], v[185:186], v[44:45]
	v_add_f64 v[193:194], v[187:188], -v[100:101]
	v_fma_f64 v[136:137], v[104:105], v[64:65], -v[136:137]
	v_fma_f64 v[138:139], v[106:107], v[64:65], v[138:139]
	v_fma_f64 v[124:125], v[128:129], v[68:69], -v[140:141]
	v_fma_f64 v[126:127], v[130:131], v[68:69], v[142:143]
	v_add_f64 v[191:192], v[187:188], v[100:101]
	v_mul_f64 v[130:131], v[94:95], v[90:91]
	v_add_f64 v[128:129], v[134:135], -v[122:123]
	v_add_f64 v[104:105], v[132:133], -v[120:121]
	v_mul_f64 v[140:141], v[92:93], v[90:91]
	v_fma_f64 v[148:149], v[116:117], v[76:77], -v[144:145]
	v_fma_f64 v[152:153], v[118:119], v[76:77], v[146:147]
	v_fma_f64 v[144:145], v[108:109], v[80:81], -v[150:151]
	v_fma_f64 v[146:147], v[110:111], v[80:81], v[154:155]
	v_add_f64 v[106:107], v[132:133], v[120:121]
	v_add_f64 v[116:117], v[134:135], v[122:123]
	v_mul_f64 v[197:198], v[189:190], s[0:1]
	v_mul_f64 v[199:200], v[193:194], s[0:1]
	v_add_f64 v[108:109], v[136:137], -v[124:125]
	v_add_f64 v[142:143], v[138:139], -v[126:127]
	v_add_f64 v[110:111], v[136:137], v[124:125]
	v_fma_f64 v[163:164], v[92:93], v[88:89], -v[130:131]
	v_mul_f64 v[169:170], v[128:129], s[16:17]
	v_mul_f64 v[171:172], v[104:105], s[16:17]
	v_fma_f64 v[167:168], v[94:95], v[88:89], v[140:141]
	v_add_f64 v[154:155], v[138:139], v[126:127]
	v_add_f64 v[112:113], v[148:149], -v[144:145]
	v_add_f64 v[157:158], v[152:153], -v[146:147]
	v_add_f64 v[114:115], v[148:149], v[144:145]
	v_add_f64 v[165:166], v[152:153], v[146:147]
	v_fma_f64 v[118:119], v[191:192], s[4:5], v[197:198]
	v_fma_f64 v[150:151], v[195:196], s[4:5], -v[199:200]
	v_mul_f64 v[177:178], v[108:109], s[18:19]
	v_mul_f64 v[173:174], v[142:143], s[18:19]
	v_add_f64 v[130:131], v[163:164], -v[159:160]
	v_fma_f64 v[92:93], v[106:107], s[6:7], v[169:170]
	v_fma_f64 v[94:95], v[116:117], s[6:7], -v[171:172]
	v_mul_f64 v[181:182], v[112:113], s[20:21]
	v_mul_f64 v[179:180], v[157:158], s[20:21]
	v_add_f64 v[140:141], v[96:97], v[118:119]
	v_add_f64 v[118:119], v[167:168], -v[161:162]
	v_add_f64 v[150:151], v[98:99], v[150:151]
	v_fma_f64 v[229:230], v[154:155], s[22:23], -v[177:178]
	v_fma_f64 v[227:228], v[110:111], s[22:23], v[173:174]
	v_mul_f64 v[183:184], v[130:131], s[26:27]
	v_fma_f64 v[233:234], v[165:166], s[24:25], -v[181:182]
	v_fma_f64 v[231:232], v[114:115], s[24:25], v[179:180]
	v_add_f64 v[92:93], v[92:93], v[140:141]
	v_add_f64 v[140:141], v[163:164], v[159:160]
	;; [unrolled: 1-line block ×4, first 2 shown]
	v_mul_f64 v[46:47], v[118:119], s[26:27]
	v_add_f64 v[92:93], v[227:228], v[92:93]
	v_add_f64 v[94:95], v[229:230], v[94:95]
	v_fma_f64 v[229:230], v[150:151], s[28:29], -v[183:184]
	v_fma_f64 v[227:228], v[140:141], s[28:29], v[46:47]
	v_add_f64 v[92:93], v[231:232], v[92:93]
	v_add_f64 v[94:95], v[233:234], v[94:95]
	;; [unrolled: 1-line block ×4, first 2 shown]
	s_and_saveexec_b32 s33, vcc_lo
	s_cbranch_execz .LBB0_5
; %bb.4:
	v_mul_f64 v[227:228], v[195:196], s[4:5]
	buffer_store_dword v231, off, s[44:47], 0 ; 4-byte Folded Spill
	buffer_store_dword v232, off, s[44:47], 0 offset:4 ; 4-byte Folded Spill
	buffer_store_dword v233, off, s[44:47], 0 offset:8 ; 4-byte Folded Spill
	;; [unrolled: 1-line block ×3, first 2 shown]
	v_mul_f64 v[229:230], v[195:196], s[24:25]
	v_mul_f64 v[231:232], v[195:196], s[22:23]
	s_mov_b32 s41, 0x3fd207e7
	s_mov_b32 s40, s26
	;; [unrolled: 1-line block ×8, first 2 shown]
	v_mul_f64 v[241:242], v[189:190], s[20:21]
	v_mov_b32_e32 v93, v216
	v_mov_b32_e32 v216, v214
	;; [unrolled: 1-line block ×4, first 2 shown]
	v_mul_f64 v[243:244], v[189:190], s[18:19]
	v_add_f64 v[253:254], v[98:99], v[185:186]
	buffer_store_dword v226, off, s[44:47], 0 offset:16 ; 4-byte Folded Spill
	v_mov_b32_e32 v226, v175
	v_add_f64 v[175:176], v[96:97], v[187:188]
	v_add_f64 v[199:200], v[199:200], v[227:228]
	v_mul_f64 v[227:228], v[191:192], s[4:5]
	v_fma_f64 v[235:236], v[193:194], s[30:31], v[229:230]
	v_fma_f64 v[229:230], v[193:194], s[20:21], v[229:230]
	;; [unrolled: 1-line block ×4, first 2 shown]
	s_mov_b32 s39, 0x3fe14ced
	s_mov_b32 s38, s0
	v_mov_b32_e32 v94, v217
	v_mov_b32_e32 v217, v205
	;; [unrolled: 1-line block ×4, first 2 shown]
	v_fma_f64 v[247:248], v[191:192], s[24:25], v[241:242]
	v_fma_f64 v[241:242], v[191:192], s[24:25], -v[241:242]
	v_mov_b32_e32 v218, v207
	buffer_store_dword v44, off, s[44:47], 0 offset:20 ; 4-byte Folded Spill
	buffer_store_dword v45, off, s[44:47], 0 offset:24 ; 4-byte Folded Spill
	;; [unrolled: 1-line block ×4, first 2 shown]
	v_fma_f64 v[249:250], v[191:192], s[22:23], -v[243:244]
	v_fma_f64 v[243:244], v[191:192], s[22:23], v[243:244]
	v_mov_b32_e32 v44, v156
	v_mov_b32_e32 v156, v201
	;; [unrolled: 1-line block ×3, first 2 shown]
	v_add_f64 v[199:200], v[98:99], v[199:200]
	v_add_f64 v[197:198], v[227:228], -v[197:198]
	v_mul_f64 v[227:228], v[195:196], s[28:29]
	v_mul_f64 v[195:196], v[195:196], s[6:7]
	v_add_f64 v[229:230], v[98:99], v[229:230]
	v_add_f64 v[237:238], v[98:99], v[237:238]
	;; [unrolled: 1-line block ×3, first 2 shown]
	v_mov_b32_e32 v219, v208
	v_mov_b32_e32 v101, v209
	;; [unrolled: 1-line block ×4, first 2 shown]
	v_mul_f64 v[210:211], v[150:151], s[22:23]
	v_mov_b32_e32 v102, v212
	v_mov_b32_e32 v103, v224
	;; [unrolled: 1-line block ×3, first 2 shown]
	v_mul_f64 v[212:213], v[118:119], s[18:19]
	v_add_f64 v[134:135], v[253:254], v[134:135]
	v_add_f64 v[132:133], v[175:176], v[132:133]
	;; [unrolled: 1-line block ×4, first 2 shown]
	v_fma_f64 v[233:234], v[193:194], s[40:41], v[227:228]
	v_fma_f64 v[227:228], v[193:194], s[26:27], v[227:228]
	;; [unrolled: 1-line block ×4, first 2 shown]
	v_mul_f64 v[195:196], v[189:190], s[26:27]
	v_mul_f64 v[189:190], v[189:190], s[16:17]
	v_add_f64 v[134:135], v[134:135], v[138:139]
	v_add_f64 v[132:133], v[132:133], v[136:137]
	v_mul_f64 v[136:137], v[116:117], s[24:25]
	v_add_f64 v[185:186], v[98:99], v[233:234]
	v_add_f64 v[233:234], v[96:97], v[247:248]
	;; [unrolled: 1-line block ×4, first 2 shown]
	v_fma_f64 v[245:246], v[191:192], s[28:29], v[195:196]
	v_fma_f64 v[251:252], v[191:192], s[6:7], -v[189:190]
	v_fma_f64 v[189:190], v[191:192], s[6:7], v[189:190]
	v_fma_f64 v[195:196], v[191:192], s[28:29], -v[195:196]
	v_add_f64 v[191:192], v[98:99], v[227:228]
	v_add_f64 v[227:228], v[98:99], v[235:236]
	;; [unrolled: 1-line block ×5, first 2 shown]
	v_fma_f64 v[138:139], v[104:105], s[20:21], v[136:137]
	v_mul_f64 v[148:149], v[128:129], s[20:21]
	v_add_f64 v[187:188], v[96:97], v[245:246]
	v_add_f64 v[241:242], v[96:97], v[251:252]
	;; [unrolled: 1-line block ×3, first 2 shown]
	v_mul_f64 v[189:190], v[116:117], s[4:5]
	v_add_f64 v[195:196], v[96:97], v[195:196]
	v_add_f64 v[245:246], v[96:97], v[249:250]
	;; [unrolled: 1-line block ×4, first 2 shown]
	v_mul_f64 v[163:164], v[154:155], s[28:29]
	v_add_f64 v[138:139], v[138:139], v[239:240]
	v_fma_f64 v[152:153], v[106:107], s[24:25], -v[148:149]
	v_fma_f64 v[96:97], v[104:105], s[0:1], v[189:190]
	v_fma_f64 v[189:190], v[104:105], s[38:39], v[189:190]
	v_add_f64 v[134:135], v[134:135], v[161:162]
	v_add_f64 v[132:133], v[132:133], v[159:160]
	v_fma_f64 v[167:168], v[108:109], s[40:41], v[163:164]
	v_mul_f64 v[159:160], v[142:143], s[40:41]
	v_add_f64 v[152:153], v[152:153], v[241:242]
	v_add_f64 v[96:97], v[96:97], v[185:186]
	v_mul_f64 v[185:186], v[128:129], s[38:39]
	v_add_f64 v[189:190], v[189:190], v[191:192]
	v_fma_f64 v[191:192], v[140:141], s[22:23], -v[212:213]
	v_add_f64 v[134:135], v[134:135], v[146:147]
	v_add_f64 v[132:133], v[132:133], v[144:145]
	v_mul_f64 v[144:145], v[165:166], s[22:23]
	v_add_f64 v[138:139], v[167:168], v[138:139]
	v_fma_f64 v[161:162], v[110:111], s[28:29], -v[159:160]
	v_fma_f64 v[98:99], v[106:107], s[4:5], v[185:186]
	v_fma_f64 v[185:186], v[106:107], s[4:5], -v[185:186]
	v_add_f64 v[126:127], v[134:135], v[126:127]
	v_add_f64 v[124:125], v[132:133], v[124:125]
	v_fma_f64 v[146:147], v[112:113], s[36:37], v[144:145]
	v_mul_f64 v[132:133], v[157:158], s[36:37]
	v_add_f64 v[152:153], v[161:162], v[152:153]
	v_add_f64 v[98:99], v[98:99], v[187:188]
	v_mul_f64 v[187:188], v[154:155], s[24:25]
	v_add_f64 v[185:186], v[185:186], v[195:196]
	v_mul_f64 v[195:196], v[116:117], s[22:23]
	v_add_f64 v[122:123], v[126:127], v[122:123]
	v_add_f64 v[120:121], v[124:125], v[120:121]
	v_add_f64 v[138:139], v[146:147], v[138:139]
	v_fma_f64 v[134:135], v[114:115], s[22:23], -v[132:133]
	v_mul_f64 v[126:127], v[128:129], s[40:41]
	v_mul_f64 v[146:147], v[154:155], s[6:7]
	v_fma_f64 v[249:250], v[108:109], s[30:31], v[187:188]
	v_fma_f64 v[187:188], v[108:109], s[20:21], v[187:188]
	v_add_f64 v[134:135], v[134:135], v[152:153]
	v_fma_f64 v[152:153], v[108:109], s[34:35], v[146:147]
	v_fma_f64 v[146:147], v[108:109], s[16:17], v[146:147]
	v_add_f64 v[96:97], v[249:250], v[96:97]
	v_mul_f64 v[249:250], v[142:143], s[20:21]
	v_add_f64 v[187:188], v[187:188], v[189:190]
	v_fma_f64 v[251:252], v[110:111], s[24:25], v[249:250]
	v_fma_f64 v[189:190], v[110:111], s[24:25], -v[249:250]
	v_mul_f64 v[249:250], v[150:151], s[6:7]
	v_add_f64 v[98:99], v[251:252], v[98:99]
	v_mul_f64 v[251:252], v[165:166], s[6:7]
	v_add_f64 v[185:186], v[189:190], v[185:186]
	v_fma_f64 v[206:207], v[112:113], s[16:17], v[251:252]
	v_fma_f64 v[189:190], v[112:113], s[34:35], v[251:252]
	v_mul_f64 v[251:252], v[118:119], s[34:35]
	v_add_f64 v[96:97], v[206:207], v[96:97]
	v_mul_f64 v[206:207], v[157:158], s[34:35]
	v_add_f64 v[187:188], v[189:190], v[187:188]
	v_fma_f64 v[208:209], v[114:115], s[6:7], v[206:207]
	v_fma_f64 v[189:190], v[114:115], s[6:7], -v[206:207]
	v_mul_f64 v[206:207], v[128:129], s[36:37]
	v_fma_f64 v[128:129], v[106:107], s[28:29], -v[126:127]
	v_fma_f64 v[126:127], v[106:107], s[28:29], v[126:127]
	v_add_f64 v[208:209], v[208:209], v[98:99]
	v_fma_f64 v[98:99], v[130:131], s[36:37], v[210:211]
	v_add_f64 v[185:186], v[189:190], v[185:186]
	;; [unrolled: 2-line block ×3, first 2 shown]
	v_fma_f64 v[161:162], v[106:107], s[22:23], -v[206:207]
	v_add_f64 v[126:127], v[126:127], v[243:244]
	v_mov_b32_e32 v243, v214
	v_mov_b32_e32 v244, v92
	v_mov_b32_e32 v214, v216
	v_mov_b32_e32 v216, v93
	v_add_f64 v[98:99], v[98:99], v[96:97]
	v_fma_f64 v[96:97], v[140:141], s[22:23], v[212:213]
	v_add_f64 v[187:188], v[189:190], v[187:188]
	v_fma_f64 v[189:190], v[104:105], s[18:19], v[195:196]
	;; [unrolled: 2-line block ×3, first 2 shown]
	v_add_f64 v[161:162], v[161:162], v[235:236]
	v_mov_b32_e32 v207, v218
	v_mov_b32_e32 v218, v95
	;; [unrolled: 1-line block ×5, first 2 shown]
	v_add_f64 v[96:97], v[96:97], v[208:209]
	v_mul_f64 v[208:209], v[154:155], s[4:5]
	v_add_f64 v[189:190], v[189:190], v[227:228]
	v_add_f64 v[191:192], v[191:192], v[233:234]
	v_fma_f64 v[210:211], v[108:109], s[38:39], v[208:209]
	v_add_f64 v[189:190], v[210:211], v[189:190]
	v_mul_f64 v[210:211], v[142:143], s[0:1]
	v_mul_f64 v[142:143], v[142:143], s[34:35]
	v_fma_f64 v[212:213], v[110:111], s[4:5], v[210:211]
	v_add_f64 v[191:192], v[212:213], v[191:192]
	v_mul_f64 v[212:213], v[165:166], s[28:29]
	v_fma_f64 v[227:228], v[112:113], s[40:41], v[212:213]
	v_add_f64 v[189:190], v[227:228], v[189:190]
	;; [unrolled: 3-line block ×3, first 2 shown]
	v_fma_f64 v[191:192], v[130:131], s[16:17], v[249:250]
	v_add_f64 v[191:192], v[191:192], v[189:190]
	v_fma_f64 v[189:190], v[140:141], s[6:7], v[251:252]
	v_add_f64 v[189:190], v[189:190], v[233:234]
	v_mul_f64 v[233:234], v[116:117], s[6:7]
	v_mul_f64 v[116:117], v[116:117], s[28:29]
	v_add_f64 v[171:172], v[171:172], v[233:234]
	v_fma_f64 v[124:125], v[104:105], s[40:41], v[116:117]
	v_mul_f64 v[233:234], v[106:107], s[6:7]
	v_fma_f64 v[116:117], v[104:105], s[26:27], v[116:117]
	v_fma_f64 v[106:107], v[106:107], s[24:25], v[148:149]
	v_add_f64 v[171:172], v[171:172], v[199:200]
	v_add_f64 v[124:125], v[124:125], v[231:232]
	v_add_f64 v[169:170], v[233:234], -v[169:170]
	v_mul_f64 v[233:234], v[154:155], s[22:23]
	v_add_f64 v[116:117], v[116:117], v[237:238]
	v_add_f64 v[106:107], v[106:107], v[247:248]
	v_add_f64 v[124:125], v[152:153], v[124:125]
	v_fma_f64 v[152:153], v[110:111], s[6:7], -v[142:143]
	v_add_f64 v[177:178], v[177:178], v[233:234]
	v_mul_f64 v[233:234], v[110:111], s[22:23]
	v_add_f64 v[169:170], v[169:170], v[197:198]
	v_mul_f64 v[197:198], v[165:166], s[24:25]
	v_add_f64 v[116:117], v[146:147], v[116:117]
	v_fma_f64 v[142:143], v[110:111], s[6:7], v[142:143]
	v_add_f64 v[128:129], v[152:153], v[128:129]
	v_mul_f64 v[152:153], v[165:166], s[4:5]
	v_fma_f64 v[165:166], v[108:109], s[0:1], v[208:209]
	v_add_f64 v[173:174], v[233:234], -v[173:174]
	v_add_f64 v[171:172], v[177:178], v[171:172]
	v_mul_f64 v[177:178], v[114:115], s[24:25]
	v_fma_f64 v[108:109], v[108:109], s[26:27], v[163:164]
	s_clause 0x3
	buffer_load_dword v231, off, s[44:47], 0
	buffer_load_dword v232, off, s[44:47], 0 offset:4
	buffer_load_dword v233, off, s[44:47], 0 offset:8
	;; [unrolled: 1-line block ×3, first 2 shown]
	v_mov_b32_e32 v208, v219
	v_mov_b32_e32 v219, v201
	;; [unrolled: 1-line block ×4, first 2 shown]
	v_add_f64 v[126:127], v[142:143], v[126:127]
	v_add_f64 v[181:182], v[181:182], v[197:198]
	v_fma_f64 v[142:143], v[130:131], s[34:35], v[249:250]
	v_mov_b32_e32 v209, v101
	v_fma_f64 v[154:155], v[112:113], s[0:1], v[152:153]
	v_add_f64 v[169:170], v[173:174], v[169:170]
	v_mul_f64 v[173:174], v[150:151], s[28:29]
	v_add_f64 v[177:178], v[177:178], -v[179:180]
	v_mul_f64 v[179:180], v[140:141], s[28:29]
	v_add_f64 v[171:172], v[181:182], v[171:172]
	v_add_f64 v[124:125], v[154:155], v[124:125]
	v_mul_f64 v[154:155], v[157:158], s[0:1]
	v_add_f64 v[173:174], v[183:184], v[173:174]
	v_add_f64 v[169:170], v[177:178], v[169:170]
	v_add_f64 v[175:176], v[179:180], -v[46:47]
	v_fma_f64 v[157:158], v[114:115], s[4:5], -v[154:155]
	v_add_f64 v[128:129], v[157:158], v[128:129]
	v_fma_f64 v[157:158], v[104:105], s[36:37], v[195:196]
	v_fma_f64 v[104:105], v[104:105], s[30:31], v[136:137]
	v_fma_f64 v[136:137], v[112:113], s[38:39], v[152:153]
	v_add_f64 v[157:158], v[157:158], v[229:230]
	v_add_f64 v[104:105], v[104:105], v[193:194]
	;; [unrolled: 1-line block ×3, first 2 shown]
	v_fma_f64 v[116:117], v[114:115], s[4:5], v[154:155]
	v_add_f64 v[157:158], v[165:166], v[157:158]
	v_fma_f64 v[165:166], v[110:111], s[4:5], -v[210:211]
	v_add_f64 v[104:105], v[108:109], v[104:105]
	v_mov_b32_e32 v210, v45
	v_fma_f64 v[110:111], v[110:111], s[28:29], v[159:160]
	v_add_f64 v[126:127], v[116:117], v[126:127]
	v_fma_f64 v[108:109], v[114:115], s[22:23], v[132:133]
	v_mul_f64 v[116:117], v[150:151], s[4:5]
	v_mov_b32_e32 v211, v100
	v_add_f64 v[161:162], v[165:166], v[161:162]
	v_fma_f64 v[165:166], v[112:113], s[26:27], v[212:213]
	v_fma_f64 v[112:113], v[112:113], s[18:19], v[144:145]
	v_mov_b32_e32 v213, v224
	v_mov_b32_e32 v224, v103
	;; [unrolled: 1-line block ×3, first 2 shown]
	v_add_f64 v[106:107], v[110:111], v[106:107]
	v_fma_f64 v[110:111], v[130:131], s[38:39], v[116:117]
	v_add_f64 v[157:158], v[165:166], v[157:158]
	v_add_f64 v[146:147], v[112:113], v[104:105]
	v_mul_f64 v[104:105], v[118:119], s[20:21]
	v_mul_f64 v[112:113], v[118:119], s[38:39]
	v_fma_f64 v[165:166], v[114:115], s[28:29], -v[227:228]
	v_mul_f64 v[114:115], v[150:151], s[24:25]
	v_add_f64 v[150:151], v[108:109], v[106:107]
	v_add_f64 v[106:107], v[173:174], v[171:172]
	;; [unrolled: 1-line block ×3, first 2 shown]
	v_fma_f64 v[118:119], v[140:141], s[24:25], -v[104:105]
	v_fma_f64 v[148:149], v[140:141], s[24:25], v[104:105]
	v_add_f64 v[104:105], v[175:176], v[169:170]
	v_mov_b32_e32 v175, v226
	s_clause 0x2
	buffer_load_dword v226, off, s[44:47], 0 offset:16
	buffer_load_dword v44, off, s[44:47], 0 offset:20
	;; [unrolled: 1-line block ×3, first 2 shown]
	v_fma_f64 v[132:133], v[130:131], s[20:21], v[114:115]
	v_fma_f64 v[144:145], v[130:131], s[30:31], v[114:115]
	v_fma_f64 v[114:115], v[140:141], s[4:5], -v[112:113]
	v_add_f64 v[161:162], v[165:166], v[161:162]
	v_fma_f64 v[130:131], v[130:131], s[0:1], v[116:117]
	v_fma_f64 v[116:117], v[140:141], s[6:7], -v[251:252]
	v_fma_f64 v[140:141], v[140:141], s[4:5], v[112:113]
	v_add_f64 v[112:113], v[118:119], v[128:129]
	v_add_f64 v[118:119], v[142:143], v[157:158]
	v_mul_u32_u24_e32 v128, 0xb0, v243
	v_or_b32_e32 v128, v128, v255
	v_add_f64 v[108:109], v[114:115], v[134:135]
	v_add_f64 v[114:115], v[132:133], v[124:125]
	;; [unrolled: 1-line block ×4, first 2 shown]
	v_lshl_add_u32 v128, v128, 4, v203
	s_waitcnt vmcnt(0)
	v_add_f64 v[102:103], v[122:123], v[44:45]
	s_clause 0x1
	buffer_load_dword v44, off, s[44:47], 0 offset:28
	buffer_load_dword v45, off, s[44:47], 0 offset:32
	v_add_f64 v[122:123], v[144:145], v[136:137]
	s_waitcnt vmcnt(0)
	v_add_f64 v[100:101], v[120:121], v[44:45]
	v_add_f64 v[120:121], v[148:149], v[126:127]
	;; [unrolled: 1-line block ×3, first 2 shown]
	ds_write_b128 v128, v[100:103]
	ds_write_b128 v128, v[104:107] offset:256
	ds_write_b128 v128, v[108:111] offset:512
	;; [unrolled: 1-line block ×10, first 2 shown]
.LBB0_5:
	s_or_b32 exec_lo, exec_lo, s33
	v_lshlrev_b32_e32 v96, 6, v201
	s_waitcnt lgkmcnt(0)
	s_waitcnt_vscnt null, 0x0
	s_barrier
	buffer_gl0_inv
	s_mov_b32 s6, 0x134454ff
	v_add_co_u32 v98, s0, s14, v96
	v_add_co_ci_u32_e64 v99, null, s15, 0, s0
	s_mov_b32 s7, 0x3fee6f0e
	v_add_co_u32 v96, s0, 0x800, v98
	v_add_co_ci_u32_e64 v97, s0, 0, v99, s0
	v_add_co_u32 v104, s0, 0xae0, v98
	v_add_co_ci_u32_e64 v105, s0, 0, v99, s0
	global_load_dwordx4 v[100:103], v[96:97], off offset:736
	s_mov_b32 s5, 0xbfe2cf23
	s_clause 0x2
	global_load_dwordx4 v[108:111], v[104:105], off offset:16
	global_load_dwordx4 v[96:99], v[104:105], off offset:32
	;; [unrolled: 1-line block ×3, first 2 shown]
	ds_read_b128 v[112:115], v202 offset:2816
	ds_read_b128 v[120:123], v202 offset:4224
	;; [unrolled: 1-line block ×4, first 2 shown]
	s_mov_b32 s16, 0x372fe950
	s_mov_b32 s17, 0x3fd3c6ef
	s_waitcnt vmcnt(3) lgkmcnt(3)
	v_mul_f64 v[124:125], v[114:115], v[102:103]
	v_mul_f64 v[126:127], v[112:113], v[102:103]
	s_waitcnt vmcnt(2) lgkmcnt(1)
	v_mul_f64 v[132:133], v[118:119], v[110:111]
	v_mul_f64 v[134:135], v[116:117], v[110:111]
	v_fma_f64 v[144:145], v[112:113], v[100:101], -v[124:125]
	v_fma_f64 v[146:147], v[114:115], v[100:101], v[126:127]
	ds_read_b128 v[112:115], v202 offset:8448
	v_fma_f64 v[148:149], v[116:117], v[108:109], -v[132:133]
	v_fma_f64 v[150:151], v[118:119], v[108:109], v[134:135]
	ds_read_b128 v[132:135], v202 offset:9856
	s_waitcnt vmcnt(1) lgkmcnt(1)
	v_mul_f64 v[116:117], v[114:115], v[98:99]
	v_fma_f64 v[152:153], v[112:113], v[96:97], -v[116:117]
	v_mul_f64 v[112:113], v[112:113], v[98:99]
	v_add_f64 v[188:189], v[148:149], -v[152:153]
	v_fma_f64 v[154:155], v[114:115], v[96:97], v[112:113]
	ds_read_b128 v[112:115], v202 offset:11264
	ds_read_b128 v[136:139], v202 offset:12672
	s_waitcnt vmcnt(0) lgkmcnt(1)
	v_mul_f64 v[116:117], v[112:113], v[106:107]
	v_add_f64 v[184:185], v[150:151], -v[154:155]
	v_fma_f64 v[157:158], v[114:115], v[104:105], v[116:117]
	v_mul_f64 v[114:115], v[114:115], v[106:107]
	v_add_f64 v[182:183], v[146:147], -v[157:158]
	v_fma_f64 v[159:160], v[112:113], v[104:105], -v[114:115]
	v_lshlrev_b32_e32 v112, 6, v175
	v_add_co_u32 v114, s0, s14, v112
	v_add_co_ci_u32_e64 v115, null, s15, 0, s0
	s_mov_b32 s15, 0xbfee6f0e
	v_add_co_u32 v112, s0, 0x800, v114
	v_add_co_ci_u32_e64 v113, s0, 0, v115, s0
	v_add_co_u32 v140, s0, 0xae0, v114
	v_add_co_ci_u32_e64 v141, s0, 0, v115, s0
	s_clause 0x1
	global_load_dwordx4 v[116:119], v[112:113], off offset:736
	global_load_dwordx4 v[112:115], v[140:141], off offset:48
	v_add_f64 v[186:187], v[144:145], -v[159:160]
	s_mov_b32 s14, s6
	s_mov_b32 s0, 0x4755a5e
	;; [unrolled: 1-line block ×4, first 2 shown]
	s_waitcnt vmcnt(1)
	v_mul_f64 v[124:125], v[122:123], v[118:119]
	v_fma_f64 v[162:163], v[120:121], v[116:117], -v[124:125]
	v_mul_f64 v[120:121], v[120:121], v[118:119]
	v_fma_f64 v[164:165], v[122:123], v[116:117], v[120:121]
	s_clause 0x1
	global_load_dwordx4 v[124:127], v[140:141], off offset:16
	global_load_dwordx4 v[120:123], v[140:141], off offset:32
	s_waitcnt vmcnt(1)
	v_mul_f64 v[140:141], v[130:131], v[126:127]
	v_fma_f64 v[166:167], v[128:129], v[124:125], -v[140:141]
	v_mul_f64 v[128:129], v[128:129], v[126:127]
	v_fma_f64 v[168:169], v[130:131], v[124:125], v[128:129]
	s_waitcnt vmcnt(0)
	v_mul_f64 v[128:129], v[134:135], v[122:123]
	v_add_f64 v[130:131], v[159:160], -v[152:153]
	v_fma_f64 v[170:171], v[132:133], v[120:121], -v[128:129]
	v_mul_f64 v[128:129], v[132:133], v[122:123]
	v_fma_f64 v[172:173], v[134:135], v[120:121], v[128:129]
	s_waitcnt lgkmcnt(0)
	v_mul_f64 v[128:129], v[138:139], v[114:115]
	v_fma_f64 v[174:175], v[136:137], v[112:113], -v[128:129]
	v_mul_f64 v[128:129], v[136:137], v[114:115]
	v_add_f64 v[136:137], v[148:149], v[152:153]
	v_fma_f64 v[176:177], v[138:139], v[112:113], v[128:129]
	v_add_f64 v[128:129], v[144:145], -v[148:149]
	v_add_f64 v[140:141], v[128:129], v[130:131]
	v_add_f64 v[128:129], v[146:147], -v[150:151]
	v_add_f64 v[130:131], v[157:158], -v[154:155]
	v_add_f64 v[142:143], v[128:129], v[130:131]
	ds_read_b128 v[128:131], v202
	ds_read_b128 v[132:135], v202 offset:1408
	s_waitcnt lgkmcnt(1)
	v_fma_f64 v[178:179], v[136:137], -0.5, v[128:129]
	v_add_f64 v[136:137], v[150:151], v[154:155]
	v_fma_f64 v[180:181], v[136:137], -0.5, v[130:131]
	v_fma_f64 v[136:137], v[182:183], s[6:7], v[178:179]
	v_fma_f64 v[178:179], v[182:183], s[14:15], v[178:179]
	;; [unrolled: 1-line block ×10, first 2 shown]
	v_add_f64 v[178:179], v[144:145], v[159:160]
	v_fma_f64 v[138:139], v[142:143], s[16:17], v[138:139]
	v_fma_f64 v[142:143], v[142:143], s[16:17], v[180:181]
	v_add_f64 v[180:181], v[146:147], v[157:158]
	v_fma_f64 v[178:179], v[178:179], -0.5, v[128:129]
	v_add_f64 v[128:129], v[128:129], v[144:145]
	v_add_f64 v[144:145], v[148:149], -v[144:145]
	v_fma_f64 v[180:181], v[180:181], -0.5, v[130:131]
	v_add_f64 v[130:131], v[130:131], v[146:147]
	v_add_f64 v[146:147], v[150:151], -v[146:147]
	v_add_f64 v[128:129], v[128:129], v[148:149]
	v_add_f64 v[148:149], v[152:153], -v[159:160]
	;; [unrolled: 2-line block ×3, first 2 shown]
	v_add_f64 v[128:129], v[128:129], v[152:153]
	v_fma_f64 v[152:153], v[184:185], s[14:15], v[178:179]
	v_add_f64 v[148:149], v[144:145], v[148:149]
	v_add_f64 v[130:131], v[130:131], v[154:155]
	v_fma_f64 v[154:155], v[184:185], s[6:7], v[178:179]
	v_add_f64 v[128:129], v[128:129], v[159:160]
	v_fma_f64 v[159:160], v[188:189], s[14:15], v[180:181]
	;; [unrolled: 2-line block ×3, first 2 shown]
	v_add_f64 v[184:185], v[164:165], -v[176:177]
	v_add_f64 v[130:131], v[130:131], v[157:158]
	v_fma_f64 v[157:158], v[188:189], s[6:7], v[180:181]
	v_fma_f64 v[152:153], v[182:183], s[4:5], v[154:155]
	;; [unrolled: 1-line block ×3, first 2 shown]
	v_add_f64 v[182:183], v[168:169], -v[172:173]
	v_fma_f64 v[144:145], v[148:149], s[16:17], v[144:145]
	v_add_f64 v[188:189], v[162:163], -v[174:175]
	v_fma_f64 v[146:147], v[186:187], s[4:5], v[157:158]
	v_fma_f64 v[148:149], v[148:149], s[16:17], v[152:153]
	v_add_f64 v[152:153], v[166:167], -v[162:163]
	v_add_f64 v[186:187], v[166:167], -v[170:171]
	v_fma_f64 v[146:147], v[150:151], s[16:17], v[146:147]
	v_fma_f64 v[150:151], v[150:151], s[16:17], v[154:155]
	v_add_f64 v[154:155], v[170:171], -v[174:175]
	ds_write_b128 v202, v[128:131]
	ds_write_b128 v202, v[136:139] offset:2816
	ds_write_b128 v202, v[144:147] offset:5632
	v_lshlrev_b32_e32 v128, 4, v201
	v_add_f64 v[157:158], v[152:153], v[154:155]
	v_add_f64 v[152:153], v[168:169], -v[164:165]
	v_add_f64 v[154:155], v[172:173], -v[176:177]
	v_add_f64 v[160:161], v[152:153], v[154:155]
	v_add_f64 v[152:153], v[162:163], v[174:175]
	s_waitcnt lgkmcnt(3)
	v_fma_f64 v[178:179], v[152:153], -0.5, v[132:133]
	v_add_f64 v[152:153], v[164:165], v[176:177]
	v_fma_f64 v[180:181], v[152:153], -0.5, v[134:135]
	v_fma_f64 v[152:153], v[182:183], s[14:15], v[178:179]
	v_fma_f64 v[178:179], v[182:183], s[6:7], v[178:179]
	;; [unrolled: 1-line block ×10, first 2 shown]
	v_add_f64 v[178:179], v[166:167], v[170:171]
	v_lshl_add_u32 v157, v201, 4, v203
	v_fma_f64 v[154:155], v[160:161], s[16:17], v[154:155]
	v_fma_f64 v[160:161], v[160:161], s[16:17], v[180:181]
	v_add_f64 v[180:181], v[168:169], v[172:173]
	v_fma_f64 v[178:179], v[178:179], -0.5, v[132:133]
	v_add_f64 v[132:133], v[132:133], v[162:163]
	v_add_f64 v[162:163], v[162:163], -v[166:167]
	v_fma_f64 v[180:181], v[180:181], -0.5, v[134:135]
	v_add_f64 v[134:135], v[134:135], v[164:165]
	v_add_f64 v[164:165], v[164:165], -v[168:169]
	v_add_f64 v[132:133], v[132:133], v[166:167]
	v_add_f64 v[166:167], v[174:175], -v[170:171]
	;; [unrolled: 2-line block ×3, first 2 shown]
	v_add_f64 v[132:133], v[132:133], v[170:171]
	v_fma_f64 v[170:171], v[184:185], s[6:7], v[178:179]
	v_add_f64 v[166:167], v[162:163], v[166:167]
	v_add_f64 v[134:135], v[134:135], v[172:173]
	v_fma_f64 v[172:173], v[184:185], s[14:15], v[178:179]
	v_add_f64 v[132:133], v[132:133], v[174:175]
	v_fma_f64 v[174:175], v[188:189], s[14:15], v[180:181]
	;; [unrolled: 2-line block ×4, first 2 shown]
	v_fma_f64 v[170:171], v[182:183], s[4:5], v[172:173]
	v_fma_f64 v[164:165], v[186:187], s[4:5], v[174:175]
	;; [unrolled: 1-line block ×6, first 2 shown]
	v_add_co_u32 v178, s0, s12, v128
	v_add_co_ci_u32_e64 v179, null, s13, 0, s0
	ds_write_b128 v157, v[148:151] offset:8448
	ds_write_b128 v157, v[140:143] offset:11264
	;; [unrolled: 1-line block ×6, first 2 shown]
	v_fma_f64 v[168:169], v[168:169], s[16:17], v[172:173]
	v_add_co_u32 v128, s0, 0x3000, v178
	v_add_co_ci_u32_e64 v129, s0, 0, v179, s0
	v_add_co_u32 v132, s0, 0x3700, v178
	v_add_co_ci_u32_e64 v133, s0, 0, v179, s0
	ds_write_b128 v202, v[166:169] offset:12672
	s_waitcnt lgkmcnt(0)
	s_barrier
	buffer_gl0_inv
	s_clause 0x1
	global_load_dwordx4 v[128:131], v[128:129], off offset:1792
	global_load_dwordx4 v[132:135], v[132:133], off offset:1408
	ds_read_b128 v[136:139], v202
	ds_read_b128 v[140:143], v202 offset:1408
	s_waitcnt vmcnt(1) lgkmcnt(1)
	v_mul_f64 v[144:145], v[138:139], v[130:131]
	v_mul_f64 v[130:131], v[136:137], v[130:131]
	v_fma_f64 v[136:137], v[136:137], v[128:129], -v[144:145]
	v_fma_f64 v[138:139], v[138:139], v[128:129], v[130:131]
	v_add_co_u32 v128, s0, 0x5000, v178
	v_add_co_ci_u32_e64 v129, s0, 0, v179, s0
	v_add_co_u32 v158, s0, 0x5800, v178
	v_add_co_ci_u32_e64 v159, s0, 0, v179, s0
	s_clause 0x1
	global_load_dwordx4 v[128:131], v[128:129], off offset:640
	global_load_dwordx4 v[144:147], v[158:159], off
	ds_read_b128 v[148:151], v202 offset:7040
	ds_read_b128 v[152:155], v202 offset:5632
	v_add_co_u32 v170, s0, 0x4000, v178
	v_add_co_ci_u32_e64 v171, s0, 0, v179, s0
	s_waitcnt vmcnt(1) lgkmcnt(1)
	v_mul_f64 v[160:161], v[150:151], v[130:131]
	v_mul_f64 v[130:131], v[148:149], v[130:131]
	v_fma_f64 v[148:149], v[148:149], v[128:129], -v[160:161]
	v_fma_f64 v[150:151], v[150:151], v[128:129], v[130:131]
	v_mul_f64 v[128:129], v[142:143], v[134:135]
	v_mul_f64 v[130:131], v[140:141], v[134:135]
	v_fma_f64 v[128:129], v[140:141], v[132:133], -v[128:129]
	v_fma_f64 v[130:131], v[142:143], v[132:133], v[130:131]
	ds_read_b128 v[132:135], v202 offset:8448
	ds_read_b128 v[140:143], v202 offset:9856
	s_waitcnt vmcnt(0) lgkmcnt(1)
	v_mul_f64 v[160:161], v[134:135], v[146:147]
	v_mul_f64 v[146:147], v[132:133], v[146:147]
	v_fma_f64 v[132:133], v[132:133], v[144:145], -v[160:161]
	v_fma_f64 v[134:135], v[134:135], v[144:145], v[146:147]
	s_clause 0x1
	global_load_dwordx4 v[144:147], v[158:159], off offset:1408
	global_load_dwordx4 v[158:161], v[170:171], off offset:512
	ds_read_b128 v[162:165], v202 offset:2816
	ds_read_b128 v[166:169], v202 offset:4224
	s_waitcnt vmcnt(0) lgkmcnt(1)
	v_mul_f64 v[172:173], v[164:165], v[160:161]
	v_mul_f64 v[174:175], v[162:163], v[160:161]
	v_fma_f64 v[160:161], v[162:163], v[158:159], -v[172:173]
	v_fma_f64 v[162:163], v[164:165], v[158:159], v[174:175]
	v_mul_f64 v[158:159], v[142:143], v[146:147]
	v_mul_f64 v[146:147], v[140:141], v[146:147]
	v_fma_f64 v[140:141], v[140:141], v[144:145], -v[158:159]
	v_add_co_u32 v158, s0, 0x6000, v178
	v_add_co_ci_u32_e64 v159, s0, 0, v179, s0
	v_fma_f64 v[142:143], v[142:143], v[144:145], v[146:147]
	s_clause 0x1
	global_load_dwordx4 v[144:147], v[170:171], off offset:1920
	global_load_dwordx4 v[170:173], v[158:159], off offset:768
	s_waitcnt vmcnt(1) lgkmcnt(0)
	v_mul_f64 v[158:159], v[168:169], v[146:147]
	v_mul_f64 v[146:147], v[166:167], v[146:147]
	v_fma_f64 v[164:165], v[166:167], v[144:145], -v[158:159]
	v_fma_f64 v[166:167], v[168:169], v[144:145], v[146:147]
	ds_read_b128 v[144:147], v202 offset:11264
	ds_read_b128 v[174:177], v202 offset:12672
	s_waitcnt vmcnt(0) lgkmcnt(1)
	v_mul_f64 v[158:159], v[146:147], v[172:173]
	v_mul_f64 v[168:169], v[144:145], v[172:173]
	v_fma_f64 v[144:145], v[144:145], v[170:171], -v[158:159]
	v_add_co_u32 v158, s0, 0x4800, v178
	v_add_co_ci_u32_e64 v159, s0, 0, v179, s0
	v_add_co_u32 v172, s0, 0x6800, v178
	v_add_co_ci_u32_e64 v173, s0, 0, v179, s0
	v_fma_f64 v[146:147], v[146:147], v[170:171], v[168:169]
	s_clause 0x1
	global_load_dwordx4 v[168:171], v[158:159], off offset:1280
	global_load_dwordx4 v[178:181], v[172:173], off offset:128
	s_waitcnt vmcnt(1)
	v_mul_f64 v[158:159], v[154:155], v[170:171]
	v_mul_f64 v[170:171], v[152:153], v[170:171]
	v_fma_f64 v[152:153], v[152:153], v[168:169], -v[158:159]
	v_fma_f64 v[154:155], v[154:155], v[168:169], v[170:171]
	s_waitcnt vmcnt(0) lgkmcnt(0)
	v_mul_f64 v[158:159], v[176:177], v[180:181]
	v_mul_f64 v[170:171], v[174:175], v[180:181]
	v_fma_f64 v[168:169], v[174:175], v[178:179], -v[158:159]
	v_fma_f64 v[170:171], v[176:177], v[178:179], v[170:171]
	ds_write_b128 v202, v[136:139]
	ds_write_b128 v202, v[148:151] offset:7040
	ds_write_b128 v202, v[128:131] offset:1408
	;; [unrolled: 1-line block ×9, first 2 shown]
	s_waitcnt lgkmcnt(0)
	s_barrier
	buffer_gl0_inv
	ds_read_b128 v[128:131], v202 offset:7040
	ds_read_b128 v[132:135], v202
	ds_read_b128 v[136:139], v202 offset:1408
	ds_read_b128 v[140:143], v202 offset:5632
	;; [unrolled: 1-line block ×8, first 2 shown]
	s_waitcnt lgkmcnt(0)
	s_barrier
	buffer_gl0_inv
	v_add_f64 v[128:129], v[132:133], -v[128:129]
	v_add_f64 v[130:131], v[134:135], -v[130:131]
	v_fma_f64 v[132:133], v[132:133], 2.0, -v[128:129]
	v_fma_f64 v[134:135], v[134:135], 2.0, -v[130:131]
	ds_write_b128 v205, v[128:131] offset:16
	ds_write_b128 v205, v[132:135]
	v_add_f64 v[128:129], v[136:137], -v[144:145]
	v_add_f64 v[130:131], v[138:139], -v[146:147]
	v_fma_f64 v[132:133], v[136:137], 2.0, -v[128:129]
	v_fma_f64 v[134:135], v[138:139], 2.0, -v[130:131]
	ds_write_b128 v225, v[132:135]
	ds_write_b128 v225, v[128:131] offset:16
	v_add_f64 v[128:129], v[152:153], -v[148:149]
	v_add_f64 v[130:131], v[154:155], -v[150:151]
	v_fma_f64 v[132:133], v[152:153], 2.0, -v[128:129]
	v_fma_f64 v[134:135], v[154:155], 2.0, -v[130:131]
	ds_write_b128 v219, v[132:135]
	ds_write_b128 v219, v[128:131] offset:16
	;; [unrolled: 6-line block ×4, first 2 shown]
	s_waitcnt lgkmcnt(0)
	s_barrier
	buffer_gl0_inv
	ds_read_b128 v[128:131], v202 offset:7040
	ds_read_b128 v[132:135], v202 offset:5632
	s_waitcnt lgkmcnt(1)
	v_mul_f64 v[136:137], v[54:55], v[130:131]
	v_mul_f64 v[138:139], v[54:55], v[128:129]
	v_fma_f64 v[140:141], v[52:53], v[128:129], v[136:137]
	v_fma_f64 v[142:143], v[52:53], v[130:131], -v[138:139]
	ds_read_b128 v[128:131], v202 offset:8448
	ds_read_b128 v[136:139], v202 offset:9856
	s_waitcnt lgkmcnt(1)
	v_mul_f64 v[144:145], v[54:55], v[130:131]
	v_fma_f64 v[148:149], v[52:53], v[128:129], v[144:145]
	v_mul_f64 v[128:129], v[54:55], v[128:129]
	v_fma_f64 v[150:151], v[52:53], v[130:131], -v[128:129]
	s_waitcnt lgkmcnt(0)
	v_mul_f64 v[128:129], v[54:55], v[138:139]
	v_fma_f64 v[152:153], v[52:53], v[136:137], v[128:129]
	v_mul_f64 v[128:129], v[54:55], v[136:137]
	v_fma_f64 v[154:155], v[52:53], v[138:139], -v[128:129]
	ds_read_b128 v[128:131], v202 offset:11264
	ds_read_b128 v[136:139], v202 offset:12672
	s_waitcnt lgkmcnt(1)
	v_mul_f64 v[144:145], v[54:55], v[130:131]
	v_fma_f64 v[158:159], v[52:53], v[128:129], v[144:145]
	v_mul_f64 v[128:129], v[54:55], v[128:129]
	v_fma_f64 v[160:161], v[52:53], v[130:131], -v[128:129]
	s_waitcnt lgkmcnt(0)
	v_mul_f64 v[128:129], v[54:55], v[138:139]
	v_mul_f64 v[54:55], v[54:55], v[136:137]
	v_fma_f64 v[162:163], v[52:53], v[136:137], v[128:129]
	v_fma_f64 v[164:165], v[52:53], v[138:139], -v[54:55]
	ds_read_b128 v[52:55], v202
	ds_read_b128 v[128:131], v202 offset:1408
	s_waitcnt lgkmcnt(1)
	v_add_f64 v[136:137], v[52:53], -v[140:141]
	v_add_f64 v[138:139], v[54:55], -v[142:143]
	ds_read_b128 v[140:143], v202 offset:2816
	ds_read_b128 v[144:147], v202 offset:4224
	s_waitcnt lgkmcnt(0)
	s_barrier
	buffer_gl0_inv
	v_fma_f64 v[52:53], v[52:53], 2.0, -v[136:137]
	v_fma_f64 v[54:55], v[54:55], 2.0, -v[138:139]
	ds_write_b128 v226, v[136:139] offset:32
	ds_write_b128 v226, v[52:55]
	v_add_f64 v[52:53], v[128:129], -v[148:149]
	v_add_f64 v[54:55], v[130:131], -v[150:151]
	v_fma_f64 v[128:129], v[128:129], 2.0, -v[52:53]
	v_fma_f64 v[130:131], v[130:131], 2.0, -v[54:55]
	ds_write_b128 v156, v[128:131]
	ds_write_b128 v156, v[52:55] offset:32
	v_add_f64 v[52:53], v[140:141], -v[152:153]
	v_add_f64 v[54:55], v[142:143], -v[154:155]
	v_fma_f64 v[128:129], v[140:141], 2.0, -v[52:53]
	v_fma_f64 v[130:131], v[142:143], 2.0, -v[54:55]
	ds_write_b128 v217, v[128:131]
	ds_write_b128 v217, v[52:55] offset:32
	v_add_f64 v[52:53], v[144:145], -v[158:159]
	v_add_f64 v[54:55], v[146:147], -v[160:161]
	v_add_f64 v[128:129], v[132:133], -v[162:163]
	v_add_f64 v[130:131], v[134:135], -v[164:165]
	v_fma_f64 v[136:137], v[144:145], 2.0, -v[52:53]
	v_fma_f64 v[138:139], v[146:147], 2.0, -v[54:55]
	;; [unrolled: 1-line block ×4, first 2 shown]
	ds_write_b128 v214, v[136:139]
	ds_write_b128 v214, v[52:55] offset:32
	ds_write_b128 v212, v[132:135]
	ds_write_b128 v212, v[128:131] offset:32
	s_waitcnt lgkmcnt(0)
	s_barrier
	buffer_gl0_inv
	ds_read_b128 v[52:55], v202 offset:7040
	ds_read_b128 v[128:131], v202 offset:5632
	;; [unrolled: 1-line block ×4, first 2 shown]
	s_waitcnt lgkmcnt(3)
	v_mul_f64 v[140:141], v[50:51], v[54:55]
	v_mul_f64 v[142:143], v[50:51], v[52:53]
	s_waitcnt lgkmcnt(1)
	v_mul_f64 v[144:145], v[50:51], v[134:135]
	v_fma_f64 v[140:141], v[48:49], v[52:53], v[140:141]
	v_mul_f64 v[52:53], v[50:51], v[132:133]
	v_fma_f64 v[142:143], v[48:49], v[54:55], -v[142:143]
	s_waitcnt lgkmcnt(0)
	v_mul_f64 v[54:55], v[50:51], v[138:139]
	v_fma_f64 v[144:145], v[48:49], v[132:133], v[144:145]
	v_fma_f64 v[146:147], v[48:49], v[134:135], -v[52:53]
	v_mul_f64 v[52:53], v[50:51], v[136:137]
	v_fma_f64 v[148:149], v[48:49], v[136:137], v[54:55]
	v_fma_f64 v[150:151], v[48:49], v[138:139], -v[52:53]
	ds_read_b128 v[52:55], v202 offset:11264
	ds_read_b128 v[132:135], v202 offset:12672
	s_waitcnt lgkmcnt(1)
	v_mul_f64 v[136:137], v[50:51], v[54:55]
	v_fma_f64 v[152:153], v[48:49], v[52:53], v[136:137]
	v_mul_f64 v[52:53], v[50:51], v[52:53]
	v_fma_f64 v[154:155], v[48:49], v[54:55], -v[52:53]
	s_waitcnt lgkmcnt(0)
	v_mul_f64 v[52:53], v[50:51], v[134:135]
	v_mul_f64 v[50:51], v[50:51], v[132:133]
	v_fma_f64 v[158:159], v[48:49], v[132:133], v[52:53]
	v_fma_f64 v[160:161], v[48:49], v[134:135], -v[50:51]
	ds_read_b128 v[48:51], v202
	ds_read_b128 v[52:55], v202 offset:1408
	s_waitcnt lgkmcnt(1)
	v_add_f64 v[132:133], v[48:49], -v[140:141]
	v_add_f64 v[134:135], v[50:51], -v[142:143]
	ds_read_b128 v[136:139], v202 offset:2816
	ds_read_b128 v[140:143], v202 offset:4224
	s_waitcnt lgkmcnt(0)
	s_barrier
	buffer_gl0_inv
	v_fma_f64 v[48:49], v[48:49], 2.0, -v[132:133]
	v_fma_f64 v[50:51], v[50:51], 2.0, -v[134:135]
	ds_write_b128 v224, v[132:135] offset:64
	ds_write_b128 v224, v[48:51]
	v_add_f64 v[48:49], v[52:53], -v[144:145]
	v_add_f64 v[50:51], v[54:55], -v[146:147]
	;; [unrolled: 1-line block ×4, first 2 shown]
	v_fma_f64 v[52:53], v[52:53], 2.0, -v[48:49]
	v_fma_f64 v[54:55], v[54:55], 2.0, -v[50:51]
	ds_write_b128 v218, v[52:55]
	ds_write_b128 v218, v[48:51] offset:64
	v_add_f64 v[48:49], v[136:137], -v[148:149]
	v_add_f64 v[50:51], v[138:139], -v[150:151]
	;; [unrolled: 1-line block ×4, first 2 shown]
	v_fma_f64 v[128:129], v[128:129], 2.0, -v[132:133]
	v_fma_f64 v[130:131], v[130:131], 2.0, -v[134:135]
	;; [unrolled: 1-line block ×6, first 2 shown]
	ds_write_b128 v213, v[136:139]
	ds_write_b128 v213, v[48:51] offset:64
	ds_write_b128 v211, v[140:143]
	ds_write_b128 v211, v[52:55] offset:64
	;; [unrolled: 2-line block ×3, first 2 shown]
	s_waitcnt lgkmcnt(0)
	s_barrier
	buffer_gl0_inv
	ds_read_b128 v[48:51], v202 offset:7040
	ds_read_b128 v[52:55], v202 offset:8448
	ds_read_b128 v[128:131], v202 offset:9856
	ds_read_b128 v[148:151], v202 offset:5632
	s_waitcnt lgkmcnt(3)
	v_mul_f64 v[132:133], v[42:43], v[50:51]
	v_mul_f64 v[134:135], v[42:43], v[48:49]
	s_waitcnt lgkmcnt(2)
	v_mul_f64 v[136:137], v[42:43], v[54:55]
	v_mul_f64 v[138:139], v[42:43], v[52:53]
	;; [unrolled: 3-line block ×3, first 2 shown]
	v_fma_f64 v[132:133], v[40:41], v[48:49], v[132:133]
	v_fma_f64 v[134:135], v[40:41], v[50:51], -v[134:135]
	ds_read_b128 v[48:51], v202 offset:11264
	v_fma_f64 v[136:137], v[40:41], v[52:53], v[136:137]
	v_fma_f64 v[138:139], v[40:41], v[54:55], -v[138:139]
	ds_read_b128 v[52:55], v202 offset:12672
	v_fma_f64 v[146:147], v[40:41], v[128:129], v[140:141]
	v_fma_f64 v[152:153], v[40:41], v[130:131], -v[142:143]
	s_waitcnt lgkmcnt(1)
	v_mul_f64 v[144:145], v[42:43], v[50:51]
	v_mul_f64 v[128:129], v[42:43], v[48:49]
	s_waitcnt lgkmcnt(0)
	v_mul_f64 v[130:131], v[42:43], v[54:55]
	v_mul_f64 v[42:43], v[42:43], v[52:53]
	v_fma_f64 v[144:145], v[40:41], v[48:49], v[144:145]
	v_fma_f64 v[154:155], v[40:41], v[50:51], -v[128:129]
	v_fma_f64 v[158:159], v[40:41], v[52:53], v[130:131]
	v_fma_f64 v[160:161], v[40:41], v[54:55], -v[42:43]
	ds_read_b128 v[40:43], v202
	ds_read_b128 v[52:55], v202 offset:1408
	s_waitcnt lgkmcnt(1)
	v_add_f64 v[48:49], v[40:41], -v[132:133]
	v_add_f64 v[50:51], v[42:43], -v[134:135]
	ds_read_b128 v[132:135], v202 offset:2816
	ds_read_b128 v[140:143], v202 offset:4224
	s_waitcnt lgkmcnt(2)
	v_add_f64 v[128:129], v[52:53], -v[136:137]
	v_add_f64 v[130:131], v[54:55], -v[138:139]
	s_waitcnt lgkmcnt(0)
	s_barrier
	buffer_gl0_inv
	v_add_f64 v[136:137], v[132:133], -v[146:147]
	v_add_f64 v[138:139], v[134:135], -v[152:153]
	;; [unrolled: 1-line block ×6, first 2 shown]
	v_fma_f64 v[40:41], v[40:41], 2.0, -v[48:49]
	v_fma_f64 v[42:43], v[42:43], 2.0, -v[50:51]
	;; [unrolled: 1-line block ×10, first 2 shown]
	ds_write_b128 v209, v[48:51] offset:128
	ds_write_b128 v209, v[40:43]
	ds_write_b128 v208, v[52:55]
	ds_write_b128 v208, v[128:131] offset:128
	ds_write_b128 v207, v[132:135]
	ds_write_b128 v207, v[136:139] offset:128
	;; [unrolled: 2-line block ×4, first 2 shown]
	s_waitcnt lgkmcnt(0)
	s_barrier
	buffer_gl0_inv
	s_and_saveexec_b32 s0, vcc_lo
	s_cbranch_execz .LBB0_7
; %bb.6:
	ds_read_b128 v[40:43], v202
	ds_read_b128 v[48:51], v202 offset:1280
	ds_read_b128 v[52:55], v202 offset:2560
	;; [unrolled: 1-line block ×10, first 2 shown]
.LBB0_7:
	s_or_b32 exec_lo, exec_lo, s0
	v_add_nc_u32_e32 v158, 0x580, v202
	s_waitcnt lgkmcnt(0)
	s_barrier
	buffer_gl0_inv
	s_and_saveexec_b32 s33, vcc_lo
	s_cbranch_execz .LBB0_9
; %bb.8:
	v_mul_f64 v[159:160], v[222:223], v[50:51]
	v_mul_f64 v[161:162], v[74:75], v[233:234]
	;; [unrolled: 1-line block ×18, first 2 shown]
	s_mov_b32 s22, 0xfd768dbf
	s_mov_b32 s23, 0xbfd207e7
	v_mul_f64 v[179:180], v[66:67], v[128:129]
	s_mov_b32 s18, 0xbb3a28a1
	v_fma_f64 v[159:160], v[220:221], v[48:49], v[159:160]
	v_fma_f64 v[46:47], v[72:73], v[231:232], v[161:162]
	v_mul_f64 v[161:162], v[70:71], v[150:151]
	v_fma_f64 v[74:75], v[88:89], v[136:137], v[163:164]
	v_fma_f64 v[70:71], v[84:85], v[140:141], v[165:166]
	;; [unrolled: 1-line block ×4, first 2 shown]
	v_fma_f64 v[140:141], v[220:221], v[50:51], -v[175:176]
	v_fma_f64 v[44:45], v[72:73], v[233:234], -v[177:178]
	;; [unrolled: 1-line block ×3, first 2 shown]
	v_fma_f64 v[86:87], v[76:77], v[132:133], v[167:168]
	v_fma_f64 v[62:63], v[80:81], v[144:145], v[169:170]
	v_fma_f64 v[76:77], v[76:77], v[134:135], -v[78:79]
	v_fma_f64 v[66:67], v[80:81], v[146:147], -v[82:83]
	v_fma_f64 v[78:79], v[64:65], v[128:129], v[92:93]
	v_fma_f64 v[58:59], v[68:69], v[150:151], -v[181:182]
	v_fma_f64 v[54:55], v[56:57], v[54:55], -v[183:184]
	;; [unrolled: 1-line block ×3, first 2 shown]
	s_mov_b32 s14, 0xf8bb580b
	s_mov_b32 s6, 0x9bcd5057
	s_mov_b32 s19, 0xbfe82f19
	s_mov_b32 s15, 0x3fe14ced
	s_mov_b32 s7, 0xbfeeb42a
	v_add_f64 v[84:85], v[159:160], -v[46:47]
	v_fma_f64 v[52:53], v[68:69], v[148:149], v[161:162]
	v_fma_f64 v[64:65], v[64:65], v[130:131], -v[179:180]
	v_add_f64 v[148:149], v[159:160], v[46:47]
	s_mov_b32 s16, 0x43842ef
	v_add_f64 v[56:57], v[136:137], -v[48:49]
	s_mov_b32 s4, 0x7f775887
	v_add_f64 v[60:61], v[140:141], -v[44:45]
	v_add_f64 v[68:69], v[140:141], v[44:45]
	s_mov_b32 s12, 0x8764f0ba
	s_mov_b32 s17, 0xbfefac9e
	;; [unrolled: 1-line block ×6, first 2 shown]
	v_fma_f64 v[88:89], v[88:89], v[138:139], -v[90:91]
	v_add_f64 v[132:133], v[54:55], -v[50:51]
	v_add_f64 v[144:145], v[54:55], v[50:51]
	v_add_f64 v[90:91], v[86:87], -v[62:63]
	v_add_f64 v[165:166], v[136:137], v[48:49]
	s_mov_b32 s0, 0x640f44db
	s_mov_b32 s1, 0xbfc2375f
	v_mul_f64 v[80:81], v[84:85], s[22:23]
	v_add_f64 v[92:93], v[78:79], -v[52:53]
	v_mul_f64 v[175:176], v[84:85], s[18:19]
	v_add_f64 v[130:131], v[64:65], -v[58:59]
	v_add_f64 v[142:143], v[64:65], v[58:59]
	v_mul_f64 v[150:151], v[56:57], s[14:15]
	v_mul_f64 v[191:192], v[56:57], s[26:27]
	;; [unrolled: 1-line block ×6, first 2 shown]
	s_mov_b32 s25, 0x3fed1bb4
	s_mov_b32 s24, 0x8eee2c13
	;; [unrolled: 1-line block ×5, first 2 shown]
	v_mul_f64 v[181:182], v[132:133], s[14:15]
	s_mov_b32 s30, s22
	v_add_f64 v[82:83], v[74:75], -v[70:71]
	v_add_f64 v[128:129], v[76:77], -v[66:67]
	v_add_f64 v[138:139], v[76:77], v[66:67]
	v_add_f64 v[161:162], v[78:79], v[52:53]
	v_fma_f64 v[163:164], v[68:69], s[6:7], v[80:81]
	v_mul_f64 v[171:172], v[92:93], s[18:19]
	v_fma_f64 v[80:81], v[68:69], s[6:7], -v[80:81]
	v_fma_f64 v[216:217], v[68:69], s[4:5], v[175:176]
	v_add_f64 v[140:141], v[42:43], v[140:141]
	v_fma_f64 v[195:196], v[144:145], s[12:13], v[150:151]
	v_add_f64 v[159:160], v[40:41], v[159:160]
	v_fma_f64 v[197:198], v[148:149], s[6:7], -v[152:153]
	v_fma_f64 v[152:153], v[148:149], s[6:7], v[152:153]
	v_mul_f64 v[169:170], v[90:91], s[24:25]
	v_mul_f64 v[179:180], v[130:131], s[18:19]
	;; [unrolled: 1-line block ×6, first 2 shown]
	v_fma_f64 v[230:231], v[148:149], s[4:5], -v[189:190]
	v_fma_f64 v[228:229], v[165:166], s[12:13], -v[181:182]
	;; [unrolled: 1-line block ×3, first 2 shown]
	v_fma_f64 v[181:182], v[165:166], s[12:13], v[181:182]
	v_fma_f64 v[175:176], v[68:69], s[4:5], -v[175:176]
	v_fma_f64 v[189:190], v[148:149], s[4:5], v[189:190]
	v_fma_f64 v[232:233], v[144:145], s[0:1], v[191:192]
	v_add_f64 v[163:164], v[42:43], v[163:164]
	v_fma_f64 v[226:227], v[142:143], s[4:5], v[171:172]
	v_add_f64 v[80:81], v[42:43], v[80:81]
	v_add_f64 v[216:217], v[42:43], v[216:217]
	v_fma_f64 v[238:239], v[148:149], s[0:1], -v[224:225]
	s_mov_b32 s20, 0xd9c712b6
	s_mov_b32 s21, 0x3fda9628
	v_add_f64 v[197:198], v[40:41], v[197:198]
	v_add_f64 v[152:153], v[40:41], v[152:153]
	;; [unrolled: 1-line block ×4, first 2 shown]
	v_mul_f64 v[167:168], v[82:83], s[16:17]
	v_mul_f64 v[177:178], v[128:129], s[24:25]
	;; [unrolled: 1-line block ×5, first 2 shown]
	v_add_f64 v[54:55], v[140:141], v[54:55]
	v_add_f64 v[136:137], v[159:160], v[136:137]
	v_fma_f64 v[159:160], v[138:139], s[20:21], v[169:170]
	v_fma_f64 v[236:237], v[161:162], s[4:5], -v[179:180]
	v_fma_f64 v[171:172], v[142:143], s[4:5], -v[171:172]
	v_fma_f64 v[179:180], v[161:162], s[4:5], v[179:180]
	v_add_f64 v[163:164], v[195:196], v[163:164]
	v_fma_f64 v[195:196], v[68:69], s[0:1], v[212:213]
	v_fma_f64 v[240:241], v[165:166], s[0:1], -v[206:207]
	v_fma_f64 v[191:192], v[144:145], s[0:1], -v[191:192]
	v_fma_f64 v[206:207], v[165:166], s[0:1], v[206:207]
	v_add_f64 v[175:176], v[42:43], v[175:176]
	v_add_f64 v[80:81], v[150:151], v[80:81]
	;; [unrolled: 1-line block ×5, first 2 shown]
	v_fma_f64 v[228:229], v[165:166], s[6:7], -v[222:223]
	v_add_f64 v[232:233], v[40:41], v[238:239]
	v_add_f64 v[94:95], v[88:89], -v[72:73]
	v_mul_f64 v[185:186], v[90:91], s[22:23]
	v_mul_f64 v[199:200], v[128:129], s[22:23]
	;; [unrolled: 1-line block ×4, first 2 shown]
	v_fma_f64 v[140:141], v[134:135], s[0:1], v[167:168]
	v_fma_f64 v[181:182], v[154:155], s[20:21], -v[177:178]
	v_fma_f64 v[169:170], v[138:139], s[20:21], -v[169:170]
	v_fma_f64 v[177:178], v[154:155], s[20:21], v[177:178]
	v_fma_f64 v[238:239], v[161:162], s[12:13], -v[204:205]
	v_add_f64 v[152:153], v[226:227], v[163:164]
	v_add_f64 v[163:164], v[40:41], v[189:190]
	v_fma_f64 v[189:190], v[144:145], s[6:7], v[214:215]
	v_add_f64 v[195:196], v[42:43], v[195:196]
	v_fma_f64 v[226:227], v[142:143], s[12:13], v[187:188]
	v_fma_f64 v[187:188], v[142:143], s[12:13], -v[187:188]
	v_fma_f64 v[204:205], v[161:162], s[12:13], v[204:205]
	v_add_f64 v[175:176], v[191:192], v[175:176]
	v_add_f64 v[191:192], v[236:237], v[197:198]
	;; [unrolled: 1-line block ×4, first 2 shown]
	v_fma_f64 v[179:180], v[148:149], s[0:1], v[224:225]
	v_fma_f64 v[197:198], v[142:143], s[20:21], v[210:211]
	v_add_f64 v[224:225], v[228:229], v[232:233]
	v_add_f64 v[64:65], v[54:55], v[64:65]
	;; [unrolled: 1-line block ×3, first 2 shown]
	v_mul_f64 v[183:184], v[82:83], s[24:25]
	v_mul_f64 v[193:194], v[94:95], s[24:25]
	s_mov_b32 s25, 0xbfed1bb4
	v_add_f64 v[146:147], v[74:75], v[70:71]
	v_fma_f64 v[212:213], v[68:69], s[0:1], -v[212:213]
	v_fma_f64 v[171:172], v[138:139], s[6:7], v[185:186]
	v_add_f64 v[152:153], v[159:160], v[152:153]
	v_add_f64 v[159:160], v[206:207], v[163:164]
	v_fma_f64 v[185:186], v[138:139], s[6:7], -v[185:186]
	v_add_f64 v[189:190], v[189:190], v[195:196]
	v_add_f64 v[206:207], v[226:227], v[216:217]
	v_fma_f64 v[216:217], v[161:162], s[20:21], -v[220:221]
	v_fma_f64 v[195:196], v[154:155], s[6:7], -v[199:200]
	v_fma_f64 v[199:200], v[154:155], s[6:7], v[199:200]
	v_add_f64 v[175:176], v[187:188], v[175:176]
	v_add_f64 v[181:182], v[181:182], v[191:192]
	;; [unrolled: 1-line block ×5, first 2 shown]
	v_fma_f64 v[177:178], v[138:139], s[12:13], v[208:209]
	v_mul_f64 v[187:188], v[84:85], s[24:25]
	v_fma_f64 v[191:192], v[154:155], s[12:13], -v[218:219]
	v_mul_f64 v[84:85], v[84:85], s[28:29]
	v_add_f64 v[64:65], v[64:65], v[76:77]
	v_add_f64 v[76:77], v[78:79], v[86:87]
	v_mul_f64 v[78:79], v[60:61], s[28:29]
	v_mul_f64 v[60:61], v[60:61], s[24:25]
	v_fma_f64 v[214:215], v[144:145], s[6:7], -v[214:215]
	v_add_f64 v[54:55], v[140:141], v[152:153]
	v_add_f64 v[140:141], v[204:205], v[159:160]
	v_fma_f64 v[159:160], v[165:166], s[6:7], v[222:223]
	v_add_f64 v[179:180], v[197:198], v[189:190]
	v_add_f64 v[136:137], v[42:43], v[212:213]
	;; [unrolled: 1-line block ×3, first 2 shown]
	v_fma_f64 v[204:205], v[146:147], s[20:21], -v[193:194]
	v_add_f64 v[171:172], v[171:172], v[206:207]
	v_add_f64 v[175:176], v[185:186], v[175:176]
	v_fma_f64 v[185:186], v[146:147], s[20:21], v[193:194]
	v_fma_f64 v[193:194], v[161:162], s[20:21], v[220:221]
	v_mul_f64 v[206:207], v[132:133], s[18:19]
	v_mul_f64 v[132:133], v[132:133], s[24:25]
	v_add_f64 v[230:231], v[40:41], v[230:231]
	v_fma_f64 v[163:164], v[134:135], s[20:21], v[183:184]
	v_fma_f64 v[86:87], v[134:135], s[20:21], -v[183:184]
	v_fma_f64 v[183:184], v[142:143], s[20:21], -v[210:211]
	v_add_f64 v[64:65], v[64:65], v[88:89]
	v_add_f64 v[74:75], v[76:77], v[74:75]
	v_fma_f64 v[76:77], v[148:149], s[12:13], v[78:79]
	v_fma_f64 v[88:89], v[148:149], s[20:21], v[60:61]
	v_fma_f64 v[60:61], v[148:149], s[20:21], -v[60:61]
	v_fma_f64 v[78:79], v[148:149], s[12:13], -v[78:79]
	v_add_f64 v[140:141], v[199:200], v[140:141]
	v_add_f64 v[159:160], v[159:160], v[169:170]
	;; [unrolled: 1-line block ×3, first 2 shown]
	v_mul_f64 v[179:180], v[56:57], s[18:19]
	v_fma_f64 v[199:200], v[68:69], s[20:21], -v[187:188]
	v_add_f64 v[191:192], v[191:192], v[197:198]
	v_mul_f64 v[56:57], v[56:57], s[24:25]
	v_fma_f64 v[197:198], v[68:69], s[12:13], -v[84:85]
	v_fma_f64 v[187:188], v[68:69], s[20:21], v[187:188]
	v_fma_f64 v[68:69], v[68:69], s[12:13], v[84:85]
	v_add_f64 v[136:137], v[214:215], v[136:137]
	v_mul_f64 v[148:149], v[92:93], s[30:31]
	v_mul_f64 v[92:93], v[92:93], s[16:17]
	v_fma_f64 v[216:217], v[165:166], s[20:21], v[132:133]
	v_fma_f64 v[212:213], v[165:166], s[4:5], v[206:207]
	v_add_f64 v[230:231], v[240:241], v[230:231]
	v_add_f64 v[64:65], v[64:65], v[72:73]
	;; [unrolled: 1-line block ×7, first 2 shown]
	v_mul_f64 v[78:79], v[90:91], s[26:27]
	v_add_f64 v[84:85], v[193:194], v[159:160]
	v_mul_f64 v[159:160], v[130:131], s[30:31]
	v_fma_f64 v[193:194], v[144:145], s[4:5], -v[179:180]
	v_add_f64 v[199:200], v[42:43], v[199:200]
	v_mul_f64 v[130:131], v[130:131], s[16:17]
	v_fma_f64 v[214:215], v[144:145], s[20:21], -v[56:57]
	v_add_f64 v[197:198], v[42:43], v[197:198]
	v_fma_f64 v[76:77], v[144:145], s[4:5], v[179:180]
	v_add_f64 v[88:89], v[42:43], v[187:188]
	v_fma_f64 v[179:180], v[165:166], s[4:5], -v[206:207]
	v_fma_f64 v[56:57], v[144:145], s[20:21], v[56:57]
	v_add_f64 v[42:43], v[42:43], v[68:69]
	v_fma_f64 v[68:69], v[165:166], s[20:21], -v[132:133]
	v_mul_f64 v[90:91], v[90:91], s[18:19]
	v_mul_f64 v[132:133], v[128:129], s[26:27]
	v_add_f64 v[64:65], v[64:65], v[66:67]
	v_add_f64 v[62:63], v[70:71], v[62:63]
	v_fma_f64 v[144:145], v[142:143], s[6:7], -v[148:149]
	v_mul_f64 v[128:129], v[128:129], s[18:19]
	v_add_f64 v[66:67], v[216:217], v[72:73]
	v_add_f64 v[70:71], v[212:213], v[74:75]
	v_fma_f64 v[72:73], v[142:143], s[6:7], v[148:149]
	v_mul_f64 v[152:153], v[82:83], s[18:19]
	v_fma_f64 v[187:188], v[161:162], s[6:7], v[159:160]
	v_mul_f64 v[173:174], v[94:95], s[16:17]
	v_add_f64 v[165:166], v[193:194], v[199:200]
	v_fma_f64 v[193:194], v[142:143], s[0:1], -v[92:93]
	v_fma_f64 v[199:200], v[161:162], s[0:1], v[130:131]
	v_add_f64 v[197:198], v[214:215], v[197:198]
	v_mul_f64 v[189:190], v[94:95], s[18:19]
	v_add_f64 v[74:75], v[76:77], v[88:89]
	v_fma_f64 v[76:77], v[161:162], s[6:7], -v[159:160]
	v_add_f64 v[60:61], v[179:180], v[60:61]
	v_fma_f64 v[88:89], v[142:143], s[0:1], v[92:93]
	v_add_f64 v[42:43], v[56:57], v[42:43]
	v_fma_f64 v[56:57], v[161:162], s[0:1], -v[130:131]
	v_add_f64 v[40:41], v[68:69], v[40:41]
	v_fma_f64 v[148:149], v[138:139], s[4:5], -v[90:91]
	v_add_f64 v[58:59], v[64:65], v[58:59]
	v_add_f64 v[52:53], v[62:63], v[52:53]
	v_fma_f64 v[208:209], v[138:139], s[12:13], -v[208:209]
	v_add_f64 v[136:137], v[183:184], v[136:137]
	v_mul_f64 v[68:69], v[82:83], s[14:15]
	v_mul_f64 v[92:93], v[94:95], s[14:15]
	v_fma_f64 v[130:131], v[138:139], s[0:1], -v[78:79]
	v_mul_f64 v[82:83], v[82:83], s[22:23]
	v_mul_f64 v[94:95], v[94:95], s[22:23]
	v_add_f64 v[142:143], v[144:145], v[165:166]
	v_fma_f64 v[161:162], v[154:155], s[4:5], v[128:129]
	v_add_f64 v[62:63], v[199:200], v[66:67]
	v_add_f64 v[159:160], v[193:194], v[197:198]
	v_fma_f64 v[144:145], v[154:155], s[0:1], v[132:133]
	v_add_f64 v[64:65], v[187:188], v[70:71]
	v_fma_f64 v[183:184], v[154:155], s[12:13], v[218:219]
	;; [unrolled: 2-line block ×3, first 2 shown]
	v_add_f64 v[70:71], v[72:73], v[74:75]
	v_fma_f64 v[72:73], v[154:155], s[0:1], -v[132:133]
	v_add_f64 v[60:61], v[76:77], v[60:61]
	v_fma_f64 v[74:75], v[138:139], s[4:5], v[90:91]
	v_add_f64 v[42:43], v[88:89], v[42:43]
	v_fma_f64 v[76:77], v[154:155], s[4:5], -v[128:129]
	v_add_f64 v[40:41], v[56:57], v[40:41]
	v_fma_f64 v[169:170], v[134:135], s[4:5], v[152:153]
	v_fma_f64 v[78:79], v[134:135], s[4:5], -v[152:153]
	v_add_f64 v[152:153], v[52:53], v[48:49]
	v_add_f64 v[88:89], v[208:209], v[136:137]
	v_fma_f64 v[136:137], v[134:135], s[6:7], -v[82:83]
	v_fma_f64 v[128:129], v[134:135], s[12:13], -v[68:69]
	v_add_f64 v[130:131], v[130:131], v[142:143]
	v_fma_f64 v[142:143], v[146:147], s[6:7], v[94:95]
	v_add_f64 v[154:155], v[161:162], v[62:63]
	v_add_f64 v[138:139], v[148:149], v[159:160]
	;; [unrolled: 1-line block ×3, first 2 shown]
	v_fma_f64 v[132:133], v[146:147], s[12:13], v[92:93]
	v_add_f64 v[64:65], v[144:145], v[64:65]
	v_fma_f64 v[90:91], v[146:147], s[4:5], v[189:190]
	v_add_f64 v[84:85], v[183:184], v[84:85]
	v_fma_f64 v[234:235], v[146:147], s[0:1], -v[173:174]
	v_fma_f64 v[167:168], v[134:135], s[0:1], -v[167:168]
	v_fma_f64 v[173:174], v[146:147], s[0:1], v[173:174]
	v_add_f64 v[195:196], v[195:196], v[226:227]
	v_fma_f64 v[210:211], v[146:147], s[4:5], -v[189:190]
	v_fma_f64 v[144:145], v[134:135], s[12:13], v[68:69]
	v_add_f64 v[159:160], v[66:67], v[70:71]
	v_fma_f64 v[92:93], v[146:147], s[12:13], -v[92:93]
	v_add_f64 v[161:162], v[72:73], v[60:61]
	v_fma_f64 v[82:83], v[134:135], s[6:7], v[82:83]
	v_add_f64 v[134:135], v[74:75], v[42:43]
	v_fma_f64 v[94:95], v[146:147], s[6:7], -v[94:95]
	v_add_f64 v[146:147], v[76:77], v[40:41]
	v_add_f64 v[72:73], v[152:153], v[46:47]
	;; [unrolled: 1-line block ×16, first 2 shown]
	v_mul_u32_u24_e32 v84, 0xb0, v243
	v_add_f64 v[46:47], v[169:170], v[177:178]
	v_add_f64 v[44:45], v[210:211], v[191:192]
	;; [unrolled: 1-line block ×6, first 2 shown]
	v_or_b32_e32 v84, v84, v255
	v_lshl_add_u32 v84, v84, 4, v203
	ds_write_b128 v84, v[72:75]
	ds_write_b128 v84, v[68:71] offset:256
	ds_write_b128 v84, v[64:67] offset:512
	;; [unrolled: 1-line block ×10, first 2 shown]
.LBB0_9:
	s_or_b32 exec_lo, exec_lo, s33
	s_waitcnt lgkmcnt(0)
	s_barrier
	buffer_gl0_inv
	ds_read_b128 v[40:43], v202 offset:2816
	ds_read_b128 v[44:47], v202 offset:5632
	;; [unrolled: 1-line block ×8, first 2 shown]
	s_mov_b32 s4, 0x134454ff
	s_mov_b32 s5, 0xbfee6f0e
	;; [unrolled: 1-line block ×8, first 2 shown]
	s_waitcnt lgkmcnt(7)
	v_mul_f64 v[72:73], v[102:103], v[42:43]
	s_waitcnt lgkmcnt(6)
	v_mul_f64 v[76:77], v[110:111], v[46:47]
	v_mul_f64 v[78:79], v[110:111], v[44:45]
	s_waitcnt lgkmcnt(5)
	v_mul_f64 v[80:81], v[98:99], v[50:51]
	;; [unrolled: 3-line block ×3, first 2 shown]
	v_mul_f64 v[74:75], v[102:103], v[40:41]
	v_mul_f64 v[82:83], v[106:107], v[52:53]
	s_waitcnt lgkmcnt(2)
	v_mul_f64 v[92:93], v[126:127], v[62:63]
	v_mul_f64 v[94:95], v[126:127], v[60:61]
	s_waitcnt lgkmcnt(1)
	v_mul_f64 v[98:99], v[122:123], v[66:67]
	v_mul_f64 v[102:103], v[122:123], v[64:65]
	;; [unrolled: 1-line block ×4, first 2 shown]
	s_waitcnt lgkmcnt(0)
	v_mul_f64 v[106:107], v[114:115], v[70:71]
	v_mul_f64 v[110:111], v[114:115], v[68:69]
	v_fma_f64 v[72:73], v[100:101], v[40:41], v[72:73]
	v_fma_f64 v[76:77], v[108:109], v[44:45], v[76:77]
	v_fma_f64 v[78:79], v[108:109], v[46:47], -v[78:79]
	v_fma_f64 v[48:49], v[96:97], v[48:49], v[80:81]
	v_fma_f64 v[50:51], v[96:97], v[50:51], -v[84:85]
	;; [unrolled: 2-line block ×3, first 2 shown]
	v_fma_f64 v[54:55], v[104:105], v[54:55], -v[82:83]
	v_fma_f64 v[60:61], v[124:125], v[60:61], v[92:93]
	v_fma_f64 v[62:63], v[124:125], v[62:63], -v[94:95]
	v_fma_f64 v[64:65], v[120:121], v[64:65], v[98:99]
	;; [unrolled: 2-line block ×4, first 2 shown]
	v_fma_f64 v[70:71], v[112:113], v[70:71], -v[110:111]
	ds_read_b128 v[40:43], v202
	ds_read_b128 v[44:47], v202 offset:1408
	v_add_f64 v[88:89], v[72:73], -v[76:77]
	v_add_f64 v[94:95], v[76:77], -v[72:73]
	v_add_f64 v[82:83], v[76:77], v[48:49]
	v_add_f64 v[100:101], v[78:79], v[50:51]
	v_add_f64 v[92:93], v[72:73], v[52:53]
	v_add_f64 v[90:91], v[52:53], -v[48:49]
	v_add_f64 v[106:107], v[74:75], v[54:55]
	v_add_f64 v[84:85], v[74:75], -v[54:55]
	v_add_f64 v[86:87], v[78:79], -v[50:51]
	v_add_f64 v[110:111], v[60:61], v[64:65]
	v_add_f64 v[120:121], v[62:63], v[66:67]
	v_add_f64 v[96:97], v[48:49], -v[52:53]
	v_add_f64 v[104:105], v[74:75], -v[78:79]
	s_waitcnt lgkmcnt(1)
	v_add_f64 v[80:81], v[40:41], v[72:73]
	v_add_f64 v[114:115], v[56:57], v[68:69]
	;; [unrolled: 1-line block ×4, first 2 shown]
	v_add_f64 v[72:73], v[72:73], -v[52:53]
	v_add_f64 v[108:109], v[54:55], -v[50:51]
	;; [unrolled: 1-line block ×5, first 2 shown]
	s_waitcnt lgkmcnt(0)
	v_add_f64 v[116:117], v[44:45], v[56:57]
	v_add_f64 v[134:135], v[46:47], v[58:59]
	v_fma_f64 v[82:83], v[82:83], -0.5, v[40:41]
	v_fma_f64 v[100:101], v[100:101], -0.5, v[42:43]
	;; [unrolled: 1-line block ×3, first 2 shown]
	v_add_f64 v[118:119], v[58:59], -v[70:71]
	v_fma_f64 v[42:43], v[106:107], -0.5, v[42:43]
	v_add_f64 v[126:127], v[56:57], -v[60:61]
	v_add_f64 v[130:131], v[60:61], -v[56:57]
	;; [unrolled: 1-line block ×3, first 2 shown]
	v_fma_f64 v[110:111], v[110:111], -0.5, v[44:45]
	v_add_f64 v[124:125], v[62:63], -v[66:67]
	v_add_f64 v[128:129], v[68:69], -v[64:65]
	v_add_f64 v[76:77], v[80:81], v[76:77]
	v_add_f64 v[80:81], v[88:89], v[90:91]
	v_fma_f64 v[88:89], v[120:121], -0.5, v[46:47]
	v_add_f64 v[92:93], v[60:61], -v[64:65]
	v_fma_f64 v[44:45], v[114:115], -0.5, v[44:45]
	v_fma_f64 v[46:47], v[122:123], -0.5, v[46:47]
	v_add_f64 v[78:79], v[98:99], v[78:79]
	v_add_f64 v[136:137], v[58:59], -v[62:63]
	v_add_f64 v[58:59], v[62:63], -v[58:59]
	;; [unrolled: 1-line block ×3, first 2 shown]
	v_add_f64 v[90:91], v[94:95], v[96:97]
	v_add_f64 v[94:95], v[104:105], v[108:109]
	v_fma_f64 v[98:99], v[84:85], s[4:5], v[82:83]
	v_fma_f64 v[82:83], v[84:85], s[12:13], v[82:83]
	;; [unrolled: 1-line block ×5, first 2 shown]
	v_add_f64 v[74:75], v[74:75], v[112:113]
	v_fma_f64 v[112:113], v[102:103], s[4:5], v[42:43]
	v_fma_f64 v[42:43], v[102:103], s[12:13], v[42:43]
	;; [unrolled: 1-line block ×3, first 2 shown]
	v_add_f64 v[60:61], v[116:117], v[60:61]
	v_add_f64 v[62:63], v[134:135], v[62:63]
	v_add_f64 v[106:107], v[70:71], -v[66:67]
	v_fma_f64 v[116:117], v[118:119], s[4:5], v[110:111]
	v_fma_f64 v[122:123], v[56:57], s[12:13], v[88:89]
	v_add_f64 v[132:133], v[64:65], -v[68:69]
	v_add_f64 v[96:97], v[126:127], v[128:129]
	v_fma_f64 v[120:121], v[124:125], s[12:13], v[44:45]
	v_fma_f64 v[126:127], v[92:93], s[4:5], v[46:47]
	;; [unrolled: 1-line block ×6, first 2 shown]
	v_add_f64 v[48:49], v[76:77], v[48:49]
	v_add_f64 v[50:51], v[78:79], v[50:51]
	;; [unrolled: 1-line block ×3, first 2 shown]
	v_fma_f64 v[58:59], v[86:87], s[0:1], v[98:99]
	v_fma_f64 v[76:77], v[86:87], s[6:7], v[82:83]
	;; [unrolled: 1-line block ×8, first 2 shown]
	v_add_f64 v[60:61], v[60:61], v[64:65]
	v_add_f64 v[62:63], v[62:63], v[66:67]
	;; [unrolled: 1-line block ×3, first 2 shown]
	v_fma_f64 v[64:65], v[124:125], s[0:1], v[116:117]
	v_fma_f64 v[66:67], v[92:93], s[6:7], v[122:123]
	v_add_f64 v[114:115], v[130:131], v[132:133]
	v_fma_f64 v[102:103], v[118:119], s[0:1], v[120:121]
	v_fma_f64 v[108:109], v[56:57], s[6:7], v[126:127]
	;; [unrolled: 1-line block ×6, first 2 shown]
	s_mov_b32 s0, 0x372fe950
	s_mov_b32 s1, 0x3fd3c6ef
	v_add_f64 v[40:41], v[48:49], v[52:53]
	v_add_f64 v[42:43], v[50:51], v[54:55]
	v_fma_f64 v[44:45], v[80:81], s[0:1], v[58:59]
	v_fma_f64 v[52:53], v[90:91], s[0:1], v[78:79]
	v_fma_f64 v[46:47], v[94:95], s[0:1], v[84:85]
	v_fma_f64 v[54:55], v[74:75], s[0:1], v[98:99]
	v_fma_f64 v[56:57], v[90:91], s[0:1], v[82:83]
	v_fma_f64 v[58:59], v[74:75], s[0:1], v[72:73]
	v_fma_f64 v[48:49], v[80:81], s[0:1], v[76:77]
	v_fma_f64 v[50:51], v[94:95], s[0:1], v[86:87]
	v_add_f64 v[60:61], v[60:61], v[68:69]
	v_add_f64 v[62:63], v[62:63], v[70:71]
	v_fma_f64 v[64:65], v[96:97], s[0:1], v[64:65]
	v_fma_f64 v[66:67], v[106:107], s[0:1], v[66:67]
	;; [unrolled: 1-line block ×8, first 2 shown]
	ds_write_b128 v202, v[40:43]
	ds_write_b128 v202, v[44:47] offset:2816
	ds_write_b128 v202, v[52:55] offset:5632
	;; [unrolled: 1-line block ×9, first 2 shown]
	s_waitcnt lgkmcnt(0)
	s_barrier
	buffer_gl0_inv
	ds_read_b128 v[40:43], v202
	ds_read_b128 v[44:47], v202 offset:7040
	v_mad_u64_u32 v[60:61], null, s10, v244, 0
	v_mad_u64_u32 v[62:63], null, s8, v201, 0
	ds_read_b128 v[48:51], v202 offset:1408
	ds_read_b128 v[52:55], v202 offset:5632
	s_mov_b32 s0, 0x29e4129e
	s_mov_b32 s1, 0x3f529e41
	s_mul_i32 s4, s9, 0x1b80
	v_mov_b32_e32 v56, v61
	s_mul_hi_u32 s5, s8, 0x1b80
	v_mov_b32_e32 v57, v63
	s_mul_i32 s6, s8, 0x1b80
	s_add_i32 s5, s5, s4
	s_mul_i32 s7, s9, 0xffffea00
	v_mad_u64_u32 v[58:59], null, s11, v244, v[56:57]
	s_waitcnt lgkmcnt(3)
	v_mul_f64 v[64:65], v[2:3], v[42:43]
	v_mul_f64 v[2:3], v[2:3], v[40:41]
	s_waitcnt lgkmcnt(2)
	v_mul_f64 v[66:67], v[38:39], v[46:47]
	v_mul_f64 v[38:39], v[38:39], v[44:45]
	v_mad_u64_u32 v[68:69], null, s9, v201, v[57:58]
	v_mov_b32_e32 v61, v58
	ds_read_b128 v[56:59], v202 offset:8448
	s_mul_hi_u32 s9, s8, 0xffffea00
	v_lshlrev_b64 v[60:61], 4, v[60:61]
	v_mov_b32_e32 v63, v68
	s_waitcnt lgkmcnt(2)
	v_mul_f64 v[68:69], v[6:7], v[50:51]
	v_mul_f64 v[6:7], v[6:7], v[48:49]
	v_lshlrev_b64 v[62:63], 4, v[62:63]
	v_add_co_u32 v60, vcc_lo, s2, v60
	v_add_co_ci_u32_e32 v61, vcc_lo, s3, v61, vcc_lo
	v_fma_f64 v[70:71], v[0:1], v[42:43], -v[2:3]
	v_fma_f64 v[72:73], v[36:37], v[44:45], v[66:67]
	v_fma_f64 v[74:75], v[36:37], v[46:47], -v[38:39]
	v_fma_f64 v[64:65], v[0:1], v[40:41], v[64:65]
	ds_read_b128 v[0:3], v202 offset:2816
	s_waitcnt lgkmcnt(1)
	v_mul_f64 v[76:77], v[26:27], v[58:59]
	v_mul_f64 v[26:27], v[26:27], v[56:57]
	ds_read_b128 v[36:39], v202 offset:9856
	ds_read_b128 v[40:43], v202 offset:4224
	;; [unrolled: 1-line block ×3, first 2 shown]
	v_add_co_u32 v78, vcc_lo, v60, v62
	v_add_co_ci_u32_e32 v79, vcc_lo, v61, v63, vcc_lo
	ds_read_b128 v[60:63], v202 offset:12672
	v_fma_f64 v[48:49], v[4:5], v[48:49], v[68:69]
	v_fma_f64 v[6:7], v[4:5], v[50:51], -v[6:7]
	v_add_co_u32 v50, vcc_lo, v78, s6
	v_add_co_ci_u32_e32 v51, vcc_lo, s5, v79, vcc_lo
	s_sub_i32 s2, s9, s8
	s_mul_i32 s3, s8, 0xffffea00
	s_add_i32 s2, s2, s7
	v_mul_f64 v[66:67], v[70:71], s[0:1]
	v_mul_f64 v[68:69], v[72:73], s[0:1]
	;; [unrolled: 1-line block ×3, first 2 shown]
	s_waitcnt lgkmcnt(4)
	v_mul_f64 v[72:73], v[14:15], v[2:3]
	v_mul_f64 v[14:15], v[14:15], v[0:1]
	s_waitcnt lgkmcnt(3)
	v_mul_f64 v[74:75], v[10:11], v[38:39]
	v_mul_f64 v[10:11], v[10:11], v[36:37]
	;; [unrolled: 3-line block ×3, first 2 shown]
	v_fma_f64 v[56:57], v[24:25], v[56:57], v[76:77]
	v_fma_f64 v[24:25], v[24:25], v[58:59], -v[26:27]
	s_waitcnt lgkmcnt(1)
	v_mul_f64 v[82:83], v[22:23], v[46:47]
	v_mul_f64 v[22:23], v[22:23], v[44:45]
	;; [unrolled: 1-line block ×4, first 2 shown]
	s_waitcnt lgkmcnt(0)
	v_mul_f64 v[58:59], v[34:35], v[62:63]
	v_mul_f64 v[34:35], v[34:35], v[60:61]
	;; [unrolled: 1-line block ×4, first 2 shown]
	global_store_dwordx4 v[78:79], v[64:67], off
	global_store_dwordx4 v[50:51], v[68:71], off
	v_fma_f64 v[48:49], v[12:13], v[0:1], v[72:73]
	v_fma_f64 v[12:13], v[12:13], v[2:3], -v[14:15]
	v_fma_f64 v[14:15], v[8:9], v[36:37], v[74:75]
	v_fma_f64 v[36:37], v[8:9], v[38:39], -v[10:11]
	v_mul_f64 v[2:3], v[24:25], s[0:1]
	v_fma_f64 v[24:25], v[16:17], v[40:41], v[80:81]
	v_fma_f64 v[18:19], v[16:17], v[42:43], -v[18:19]
	v_fma_f64 v[38:39], v[20:21], v[44:45], v[82:83]
	v_fma_f64 v[22:23], v[20:21], v[46:47], -v[22:23]
	;; [unrolled: 2-line block ×4, first 2 shown]
	v_add_co_u32 v50, vcc_lo, v50, s3
	v_add_co_ci_u32_e32 v51, vcc_lo, s2, v51, vcc_lo
	v_mul_f64 v[6:7], v[6:7], s[0:1]
	v_add_co_u32 v34, vcc_lo, v50, s6
	v_add_co_ci_u32_e32 v35, vcc_lo, s5, v51, vcc_lo
	v_mul_f64 v[0:1], v[56:57], s[0:1]
	;; [unrolled: 3-line block ×3, first 2 shown]
	v_mul_f64 v[12:13], v[14:15], s[0:1]
	v_mul_f64 v[14:15], v[36:37], s[0:1]
	v_add_co_u32 v36, vcc_lo, v40, s6
	v_mul_f64 v[8:9], v[48:49], s[0:1]
	v_add_co_ci_u32_e32 v37, vcc_lo, s5, v41, vcc_lo
	v_mul_f64 v[16:17], v[24:25], s[0:1]
	v_mul_f64 v[18:19], v[18:19], s[0:1]
	;; [unrolled: 1-line block ×8, first 2 shown]
	v_add_co_u32 v32, vcc_lo, v36, s3
	v_add_co_ci_u32_e32 v33, vcc_lo, s2, v37, vcc_lo
	global_store_dwordx4 v[50:51], v[4:7], off
	v_add_co_u32 v4, vcc_lo, v32, s6
	v_add_co_ci_u32_e32 v5, vcc_lo, s5, v33, vcc_lo
	global_store_dwordx4 v[34:35], v[0:3], off
	;; [unrolled: 3-line block ×4, first 2 shown]
	global_store_dwordx4 v[32:33], v[16:19], off
	global_store_dwordx4 v[4:5], v[20:23], off
	;; [unrolled: 1-line block ×4, first 2 shown]
.LBB0_10:
	s_endpgm
	.section	.rodata,"a",@progbits
	.p2align	6, 0x0
	.amdhsa_kernel bluestein_single_back_len880_dim1_dp_op_CI_CI
		.amdhsa_group_segment_fixed_size 28160
		.amdhsa_private_segment_fixed_size 40
		.amdhsa_kernarg_size 104
		.amdhsa_user_sgpr_count 6
		.amdhsa_user_sgpr_private_segment_buffer 1
		.amdhsa_user_sgpr_dispatch_ptr 0
		.amdhsa_user_sgpr_queue_ptr 0
		.amdhsa_user_sgpr_kernarg_segment_ptr 1
		.amdhsa_user_sgpr_dispatch_id 0
		.amdhsa_user_sgpr_flat_scratch_init 0
		.amdhsa_user_sgpr_private_segment_size 0
		.amdhsa_wavefront_size32 1
		.amdhsa_uses_dynamic_stack 0
		.amdhsa_system_sgpr_private_segment_wavefront_offset 1
		.amdhsa_system_sgpr_workgroup_id_x 1
		.amdhsa_system_sgpr_workgroup_id_y 0
		.amdhsa_system_sgpr_workgroup_id_z 0
		.amdhsa_system_sgpr_workgroup_info 0
		.amdhsa_system_vgpr_workitem_id 0
		.amdhsa_next_free_vgpr 256
		.amdhsa_next_free_sgpr 48
		.amdhsa_reserve_vcc 1
		.amdhsa_reserve_flat_scratch 0
		.amdhsa_float_round_mode_32 0
		.amdhsa_float_round_mode_16_64 0
		.amdhsa_float_denorm_mode_32 3
		.amdhsa_float_denorm_mode_16_64 3
		.amdhsa_dx10_clamp 1
		.amdhsa_ieee_mode 1
		.amdhsa_fp16_overflow 0
		.amdhsa_workgroup_processor_mode 1
		.amdhsa_memory_ordered 1
		.amdhsa_forward_progress 0
		.amdhsa_shared_vgpr_count 0
		.amdhsa_exception_fp_ieee_invalid_op 0
		.amdhsa_exception_fp_denorm_src 0
		.amdhsa_exception_fp_ieee_div_zero 0
		.amdhsa_exception_fp_ieee_overflow 0
		.amdhsa_exception_fp_ieee_underflow 0
		.amdhsa_exception_fp_ieee_inexact 0
		.amdhsa_exception_int_div_zero 0
	.end_amdhsa_kernel
	.text
.Lfunc_end0:
	.size	bluestein_single_back_len880_dim1_dp_op_CI_CI, .Lfunc_end0-bluestein_single_back_len880_dim1_dp_op_CI_CI
                                        ; -- End function
	.section	.AMDGPU.csdata,"",@progbits
; Kernel info:
; codeLenInByte = 17044
; NumSgprs: 50
; NumVgprs: 256
; ScratchSize: 40
; MemoryBound: 0
; FloatMode: 240
; IeeeMode: 1
; LDSByteSize: 28160 bytes/workgroup (compile time only)
; SGPRBlocks: 6
; VGPRBlocks: 31
; NumSGPRsForWavesPerEU: 50
; NumVGPRsForWavesPerEU: 256
; Occupancy: 4
; WaveLimiterHint : 1
; COMPUTE_PGM_RSRC2:SCRATCH_EN: 1
; COMPUTE_PGM_RSRC2:USER_SGPR: 6
; COMPUTE_PGM_RSRC2:TRAP_HANDLER: 0
; COMPUTE_PGM_RSRC2:TGID_X_EN: 1
; COMPUTE_PGM_RSRC2:TGID_Y_EN: 0
; COMPUTE_PGM_RSRC2:TGID_Z_EN: 0
; COMPUTE_PGM_RSRC2:TIDIG_COMP_CNT: 0
	.text
	.p2alignl 6, 3214868480
	.fill 48, 4, 3214868480
	.type	__hip_cuid_8dd9f3e43286dd03,@object ; @__hip_cuid_8dd9f3e43286dd03
	.section	.bss,"aw",@nobits
	.globl	__hip_cuid_8dd9f3e43286dd03
__hip_cuid_8dd9f3e43286dd03:
	.byte	0                               ; 0x0
	.size	__hip_cuid_8dd9f3e43286dd03, 1

	.ident	"AMD clang version 19.0.0git (https://github.com/RadeonOpenCompute/llvm-project roc-6.4.0 25133 c7fe45cf4b819c5991fe208aaa96edf142730f1d)"
	.section	".note.GNU-stack","",@progbits
	.addrsig
	.addrsig_sym __hip_cuid_8dd9f3e43286dd03
	.amdgpu_metadata
---
amdhsa.kernels:
  - .args:
      - .actual_access:  read_only
        .address_space:  global
        .offset:         0
        .size:           8
        .value_kind:     global_buffer
      - .actual_access:  read_only
        .address_space:  global
        .offset:         8
        .size:           8
        .value_kind:     global_buffer
      - .actual_access:  read_only
        .address_space:  global
        .offset:         16
        .size:           8
        .value_kind:     global_buffer
      - .actual_access:  read_only
        .address_space:  global
        .offset:         24
        .size:           8
        .value_kind:     global_buffer
      - .actual_access:  read_only
        .address_space:  global
        .offset:         32
        .size:           8
        .value_kind:     global_buffer
      - .offset:         40
        .size:           8
        .value_kind:     by_value
      - .address_space:  global
        .offset:         48
        .size:           8
        .value_kind:     global_buffer
      - .address_space:  global
        .offset:         56
        .size:           8
        .value_kind:     global_buffer
      - .address_space:  global
        .offset:         64
        .size:           8
        .value_kind:     global_buffer
      - .address_space:  global
        .offset:         72
        .size:           8
        .value_kind:     global_buffer
      - .offset:         80
        .size:           4
        .value_kind:     by_value
      - .address_space:  global
        .offset:         88
        .size:           8
        .value_kind:     global_buffer
      - .address_space:  global
        .offset:         96
        .size:           8
        .value_kind:     global_buffer
    .group_segment_fixed_size: 28160
    .kernarg_segment_align: 8
    .kernarg_segment_size: 104
    .language:       OpenCL C
    .language_version:
      - 2
      - 0
    .max_flat_workgroup_size: 176
    .name:           bluestein_single_back_len880_dim1_dp_op_CI_CI
    .private_segment_fixed_size: 40
    .sgpr_count:     50
    .sgpr_spill_count: 0
    .symbol:         bluestein_single_back_len880_dim1_dp_op_CI_CI.kd
    .uniform_work_group_size: 1
    .uses_dynamic_stack: false
    .vgpr_count:     256
    .vgpr_spill_count: 9
    .wavefront_size: 32
    .workgroup_processor_mode: 1
amdhsa.target:   amdgcn-amd-amdhsa--gfx1030
amdhsa.version:
  - 1
  - 2
...

	.end_amdgpu_metadata
